;; amdgpu-corpus repo=ROCm/rocFFT kind=compiled arch=gfx906 opt=O3
	.text
	.amdgcn_target "amdgcn-amd-amdhsa--gfx906"
	.amdhsa_code_object_version 6
	.protected	bluestein_single_fwd_len1530_dim1_half_op_CI_CI ; -- Begin function bluestein_single_fwd_len1530_dim1_half_op_CI_CI
	.globl	bluestein_single_fwd_len1530_dim1_half_op_CI_CI
	.p2align	8
	.type	bluestein_single_fwd_len1530_dim1_half_op_CI_CI,@function
bluestein_single_fwd_len1530_dim1_half_op_CI_CI: ; @bluestein_single_fwd_len1530_dim1_half_op_CI_CI
; %bb.0:
	s_mov_b64 s[42:43], s[2:3]
	s_mov_b64 s[40:41], s[0:1]
	s_load_dwordx4 s[0:3], s[4:5], 0x28
	v_mul_u32_u24_e32 v1, 0x283, v0
	v_add_u32_sdwa v169, s6, v1 dst_sel:DWORD dst_unused:UNUSED_PAD src0_sel:DWORD src1_sel:WORD_1
	v_mov_b32_e32 v170, 0
	s_add_u32 s40, s40, s7
	s_waitcnt lgkmcnt(0)
	v_cmp_gt_u64_e32 vcc, s[0:1], v[169:170]
	s_addc_u32 s41, s41, 0
	s_and_saveexec_b64 s[0:1], vcc
	s_cbranch_execz .LBB0_23
; %bb.1:
	s_load_dwordx2 s[6:7], s[4:5], 0x0
	s_load_dwordx2 s[12:13], s[4:5], 0x38
	s_movk_i32 s0, 0x66
	v_mul_lo_u16_sdwa v1, v1, s0 dst_sel:DWORD dst_unused:UNUSED_PAD src0_sel:WORD_1 src1_sel:DWORD
	v_sub_u16_e32 v55, v0, v1
	s_movk_i32 s0, 0x5a
	v_cmp_gt_u16_e64 s[0:1], s0, v55
	v_lshlrev_b32_e32 v54, 2, v55
	s_and_saveexec_b64 s[8:9], s[0:1]
	s_cbranch_execz .LBB0_3
; %bb.2:
	s_load_dwordx2 s[10:11], s[4:5], 0x18
	s_waitcnt lgkmcnt(0)
	v_mov_b32_e32 v12, s7
	v_add_u32_e32 v13, 0x200, v54
	s_load_dwordx4 s[16:19], s[10:11], 0x0
	s_waitcnt lgkmcnt(0)
	v_mad_u64_u32 v[0:1], s[10:11], s18, v169, 0
	v_mad_u64_u32 v[2:3], s[10:11], s16, v55, 0
	;; [unrolled: 1-line block ×4, first 2 shown]
	v_mov_b32_e32 v1, v4
	v_lshlrev_b64 v[0:1], 2, v[0:1]
	v_mov_b32_e32 v3, v5
	v_mov_b32_e32 v6, s3
	v_lshlrev_b64 v[2:3], 2, v[2:3]
	v_add_co_u32_e32 v0, vcc, s2, v0
	v_addc_co_u32_e32 v1, vcc, v6, v1, vcc
	v_add_co_u32_e32 v0, vcc, v0, v2
	s_mul_i32 s2, s17, 0x168
	s_mul_hi_u32 s3, s16, 0x168
	v_addc_co_u32_e32 v1, vcc, v1, v3, vcc
	s_add_i32 s2, s3, s2
	s_mul_i32 s3, s16, 0x168
	v_mov_b32_e32 v3, s2
	v_add_co_u32_e32 v2, vcc, s3, v0
	v_addc_co_u32_e32 v3, vcc, v1, v3, vcc
	global_load_dword v4, v[0:1], off
	global_load_dword v5, v[2:3], off
	global_load_dword v6, v54, s[6:7]
	global_load_dword v7, v54, s[6:7] offset:360
	v_mov_b32_e32 v1, s2
	v_add_co_u32_e32 v0, vcc, s3, v2
	v_addc_co_u32_e32 v1, vcc, v3, v1, vcc
	global_load_dword v2, v[0:1], off
	global_load_dword v3, v54, s[6:7] offset:720
	v_mov_b32_e32 v8, s2
	v_add_co_u32_e32 v0, vcc, s3, v0
	v_addc_co_u32_e32 v1, vcc, v1, v8, vcc
	global_load_dword v8, v[0:1], off
	;; [unrolled: 5-line block ×3, first 2 shown]
	global_load_dword v11, v54, s[6:7] offset:1440
	v_add_co_u32_e32 v17, vcc, s6, v54
	v_addc_co_u32_e32 v12, vcc, 0, v12, vcc
	v_mov_b32_e32 v18, s2
	v_add_co_u32_e32 v0, vcc, s3, v0
	v_addc_co_u32_e32 v1, vcc, v1, v18, vcc
	global_load_dword v14, v54, s[6:7] offset:1800
	global_load_dword v15, v54, s[6:7] offset:2160
	;; [unrolled: 1-line block ×3, first 2 shown]
	global_load_dword v18, v[0:1], off
	v_mov_b32_e32 v19, s2
	v_add_co_u32_e32 v0, vcc, s3, v0
	v_addc_co_u32_e32 v1, vcc, v1, v19, vcc
	global_load_dword v19, v[0:1], off
	v_mov_b32_e32 v20, s2
	v_add_co_u32_e32 v0, vcc, s3, v0
	v_addc_co_u32_e32 v1, vcc, v1, v20, vcc
	s_movk_i32 s10, 0x1000
	v_mov_b32_e32 v27, s2
	s_waitcnt vmcnt(14)
	v_lshrrev_b32_e32 v21, 16, v4
	s_waitcnt vmcnt(12)
	v_mul_f16_sdwa v22, v6, v4 dst_sel:DWORD dst_unused:UNUSED_PAD src0_sel:WORD_1 src1_sel:DWORD
	v_mul_f16_sdwa v23, v6, v21 dst_sel:DWORD dst_unused:UNUSED_PAD src0_sel:WORD_1 src1_sel:DWORD
	v_fma_f16 v21, v6, v21, -v22
	v_lshrrev_b32_e32 v22, 16, v5
	s_waitcnt vmcnt(11)
	v_mul_f16_sdwa v25, v7, v5 dst_sel:DWORD dst_unused:UNUSED_PAD src0_sel:WORD_1 src1_sel:DWORD
	v_fma_f16 v4, v6, v4, v23
	v_mul_f16_sdwa v6, v7, v22 dst_sel:DWORD dst_unused:UNUSED_PAD src0_sel:WORD_1 src1_sel:DWORD
	s_waitcnt vmcnt(10)
	v_lshrrev_b32_e32 v23, 16, v2
	v_fma_f16 v22, v7, v22, -v25
	s_waitcnt vmcnt(9)
	v_mul_f16_sdwa v25, v3, v2 dst_sel:DWORD dst_unused:UNUSED_PAD src0_sel:WORD_1 src1_sel:DWORD
	v_pack_b32_f16 v4, v4, v21
	v_fma_f16 v5, v7, v5, v6
	v_mul_f16_sdwa v6, v3, v23 dst_sel:DWORD dst_unused:UNUSED_PAD src0_sel:WORD_1 src1_sel:DWORD
	s_waitcnt vmcnt(8)
	v_lshrrev_b32_e32 v21, 16, v8
	v_fma_f16 v7, v3, v23, -v25
	s_waitcnt vmcnt(7)
	v_mul_f16_sdwa v23, v9, v8 dst_sel:DWORD dst_unused:UNUSED_PAD src0_sel:WORD_1 src1_sel:DWORD
	v_fma_f16 v2, v3, v2, v6
	v_mul_f16_sdwa v3, v9, v21 dst_sel:DWORD dst_unused:UNUSED_PAD src0_sel:WORD_1 src1_sel:DWORD
	v_fma_f16 v6, v9, v21, -v23
	v_fma_f16 v3, v9, v8, v3
	v_pack_b32_f16 v3, v3, v6
	global_load_dword v6, v[0:1], off
	v_pack_b32_f16 v5, v5, v22
	v_pack_b32_f16 v2, v2, v7
	ds_write2_b32 v54, v4, v5 offset1:90
	ds_write2_b32 v13, v2, v3 offset0:52 offset1:142
	v_mov_b32_e32 v2, s2
	v_add_co_u32_e32 v0, vcc, s3, v0
	v_addc_co_u32_e32 v1, vcc, v1, v2, vcc
	s_waitcnt vmcnt(7)
	v_lshrrev_b32_e32 v21, 16, v10
	global_load_dword v7, v[0:1], off
	v_add_co_u32_e32 v0, vcc, s3, v0
	s_waitcnt vmcnt(7)
	v_mul_f16_sdwa v4, v11, v21 dst_sel:DWORD dst_unused:UNUSED_PAD src0_sel:WORD_1 src1_sel:DWORD
	v_addc_co_u32_e32 v1, vcc, v1, v2, vcc
	v_mul_f16_sdwa v22, v11, v10 dst_sel:DWORD dst_unused:UNUSED_PAD src0_sel:WORD_1 src1_sel:DWORD
	v_fma_f16 v4, v11, v10, v4
	global_load_dword v8, v[0:1], off
	global_load_dword v9, v54, s[6:7] offset:2880
	global_load_dword v10, v54, s[6:7] offset:3240
	v_add_co_u32_e32 v0, vcc, s3, v0
	v_addc_co_u32_e32 v1, vcc, v1, v2, vcc
	v_fma_f16 v5, v11, v21, -v22
	global_load_dword v11, v[0:1], off
	v_add_co_u32_e32 v0, vcc, s3, v0
	v_addc_co_u32_e32 v1, vcc, v1, v2, vcc
	global_load_dword v13, v[0:1], off
	global_load_dword v20, v54, s[6:7] offset:3600
	global_load_dword v21, v54, s[6:7] offset:3960
	v_add_co_u32_e32 v0, vcc, s3, v0
	v_addc_co_u32_e32 v1, vcc, v1, v2, vcc
	v_add_co_u32_e32 v2, vcc, s10, v17
	global_load_dword v22, v[0:1], off
	v_addc_co_u32_e32 v3, vcc, 0, v12, vcc
	global_load_dword v12, v[2:3], off offset:224
	v_mov_b32_e32 v17, s2
	v_add_co_u32_e32 v0, vcc, s3, v0
	v_addc_co_u32_e32 v1, vcc, v1, v17, vcc
	global_load_dword v17, v[0:1], off
	global_load_dword v23, v[2:3], off offset:584
	v_mov_b32_e32 v25, s2
	v_add_co_u32_e32 v0, vcc, s3, v0
	v_addc_co_u32_e32 v1, vcc, v1, v25, vcc
	global_load_dword v25, v[0:1], off
	global_load_dword v26, v[2:3], off offset:944
	v_add_co_u32_e32 v0, vcc, s3, v0
	v_addc_co_u32_e32 v1, vcc, v1, v27, vcc
	global_load_dword v27, v[0:1], off
	global_load_dword v28, v[2:3], off offset:1304
	v_pack_b32_f16 v4, v4, v5
	v_mov_b32_e32 v5, s2
	v_add_co_u32_e32 v0, vcc, s3, v0
	v_addc_co_u32_e32 v1, vcc, v1, v5, vcc
	global_load_dword v5, v[0:1], off
	global_load_dword v29, v[2:3], off offset:1664
	s_waitcnt vmcnt(20)
	v_lshrrev_b32_e32 v0, 16, v18
	v_mul_f16_sdwa v1, v14, v0 dst_sel:DWORD dst_unused:UNUSED_PAD src0_sel:WORD_1 src1_sel:DWORD
	v_mul_f16_sdwa v2, v14, v18 dst_sel:DWORD dst_unused:UNUSED_PAD src0_sel:WORD_1 src1_sel:DWORD
	v_fma_f16 v1, v14, v18, v1
	v_fma_f16 v0, v14, v0, -v2
	v_pack_b32_f16 v0, v1, v0
	v_add_u32_e32 v1, 0x400, v54
	ds_write2_b32 v1, v4, v0 offset0:104 offset1:194
	s_waitcnt vmcnt(19)
	v_lshrrev_b32_e32 v0, 16, v19
	v_mul_f16_sdwa v1, v15, v0 dst_sel:DWORD dst_unused:UNUSED_PAD src0_sel:WORD_1 src1_sel:DWORD
	v_mul_f16_sdwa v2, v15, v19 dst_sel:DWORD dst_unused:UNUSED_PAD src0_sel:WORD_1 src1_sel:DWORD
	v_fma_f16 v1, v15, v19, v1
	v_fma_f16 v0, v15, v0, -v2
	v_pack_b32_f16 v0, v1, v0
	s_waitcnt vmcnt(18)
	v_lshrrev_b32_e32 v1, 16, v6
	v_mul_f16_sdwa v2, v16, v1 dst_sel:DWORD dst_unused:UNUSED_PAD src0_sel:WORD_1 src1_sel:DWORD
	v_mul_f16_sdwa v3, v16, v6 dst_sel:DWORD dst_unused:UNUSED_PAD src0_sel:WORD_1 src1_sel:DWORD
	v_fma_f16 v2, v16, v6, v2
	v_fma_f16 v1, v16, v1, -v3
	v_pack_b32_f16 v1, v2, v1
	v_add_u32_e32 v2, 0x800, v54
	ds_write2_b32 v2, v0, v1 offset0:28 offset1:118
	s_waitcnt vmcnt(17)
	v_lshrrev_b32_e32 v0, 16, v7
	s_waitcnt vmcnt(15)
	v_mul_f16_sdwa v1, v9, v0 dst_sel:DWORD dst_unused:UNUSED_PAD src0_sel:WORD_1 src1_sel:DWORD
	v_mul_f16_sdwa v2, v9, v7 dst_sel:DWORD dst_unused:UNUSED_PAD src0_sel:WORD_1 src1_sel:DWORD
	v_fma_f16 v1, v9, v7, v1
	v_fma_f16 v0, v9, v0, -v2
	v_pack_b32_f16 v0, v1, v0
	v_lshrrev_b32_e32 v1, 16, v8
	s_waitcnt vmcnt(14)
	v_mul_f16_sdwa v2, v10, v1 dst_sel:DWORD dst_unused:UNUSED_PAD src0_sel:WORD_1 src1_sel:DWORD
	v_mul_f16_sdwa v3, v10, v8 dst_sel:DWORD dst_unused:UNUSED_PAD src0_sel:WORD_1 src1_sel:DWORD
	v_fma_f16 v2, v10, v8, v2
	v_fma_f16 v1, v10, v1, -v3
	v_pack_b32_f16 v1, v2, v1
	v_add_u32_e32 v2, 0xa00, v54
	ds_write2_b32 v2, v0, v1 offset0:80 offset1:170
	s_waitcnt vmcnt(13)
	v_lshrrev_b32_e32 v0, 16, v11
	s_waitcnt vmcnt(11)
	v_mul_f16_sdwa v1, v20, v0 dst_sel:DWORD dst_unused:UNUSED_PAD src0_sel:WORD_1 src1_sel:DWORD
	v_mul_f16_sdwa v2, v20, v11 dst_sel:DWORD dst_unused:UNUSED_PAD src0_sel:WORD_1 src1_sel:DWORD
	v_fma_f16 v1, v20, v11, v1
	v_fma_f16 v0, v20, v0, -v2
	v_pack_b32_f16 v0, v1, v0
	v_lshrrev_b32_e32 v1, 16, v13
	s_waitcnt vmcnt(10)
	v_mul_f16_sdwa v2, v21, v1 dst_sel:DWORD dst_unused:UNUSED_PAD src0_sel:WORD_1 src1_sel:DWORD
	v_mul_f16_sdwa v3, v21, v13 dst_sel:DWORD dst_unused:UNUSED_PAD src0_sel:WORD_1 src1_sel:DWORD
	v_fma_f16 v2, v21, v13, v2
	v_fma_f16 v1, v21, v1, -v3
	v_pack_b32_f16 v1, v2, v1
	v_add_u32_e32 v2, 0xc00, v54
	ds_write2_b32 v2, v0, v1 offset0:132 offset1:222
	s_waitcnt vmcnt(9)
	v_lshrrev_b32_e32 v0, 16, v22
	s_waitcnt vmcnt(8)
	v_mul_f16_sdwa v1, v12, v0 dst_sel:DWORD dst_unused:UNUSED_PAD src0_sel:WORD_1 src1_sel:DWORD
	v_mul_f16_sdwa v2, v12, v22 dst_sel:DWORD dst_unused:UNUSED_PAD src0_sel:WORD_1 src1_sel:DWORD
	v_fma_f16 v1, v12, v22, v1
	v_fma_f16 v0, v12, v0, -v2
	v_pack_b32_f16 v0, v1, v0
	s_waitcnt vmcnt(7)
	v_lshrrev_b32_e32 v1, 16, v17
	s_waitcnt vmcnt(6)
	v_mul_f16_sdwa v2, v23, v1 dst_sel:DWORD dst_unused:UNUSED_PAD src0_sel:WORD_1 src1_sel:DWORD
	v_mul_f16_sdwa v3, v23, v17 dst_sel:DWORD dst_unused:UNUSED_PAD src0_sel:WORD_1 src1_sel:DWORD
	v_fma_f16 v2, v23, v17, v2
	v_fma_f16 v1, v23, v1, -v3
	v_pack_b32_f16 v1, v2, v1
	v_add_u32_e32 v2, 0x1000, v54
	ds_write2_b32 v2, v0, v1 offset0:56 offset1:146
	s_waitcnt vmcnt(5)
	v_lshrrev_b32_e32 v0, 16, v25
	s_waitcnt vmcnt(4)
	v_mul_f16_sdwa v1, v26, v0 dst_sel:DWORD dst_unused:UNUSED_PAD src0_sel:WORD_1 src1_sel:DWORD
	v_mul_f16_sdwa v2, v26, v25 dst_sel:DWORD dst_unused:UNUSED_PAD src0_sel:WORD_1 src1_sel:DWORD
	v_fma_f16 v1, v26, v25, v1
	v_fma_f16 v0, v26, v0, -v2
	v_pack_b32_f16 v0, v1, v0
	s_waitcnt vmcnt(3)
	v_lshrrev_b32_e32 v1, 16, v27
	s_waitcnt vmcnt(2)
	v_mul_f16_sdwa v2, v28, v1 dst_sel:DWORD dst_unused:UNUSED_PAD src0_sel:WORD_1 src1_sel:DWORD
	v_mul_f16_sdwa v3, v28, v27 dst_sel:DWORD dst_unused:UNUSED_PAD src0_sel:WORD_1 src1_sel:DWORD
	v_fma_f16 v2, v28, v27, v2
	v_fma_f16 v1, v28, v1, -v3
	v_pack_b32_f16 v1, v2, v1
	v_add_u32_e32 v2, 0x1200, v54
	ds_write2_b32 v2, v0, v1 offset0:108 offset1:198
	s_waitcnt vmcnt(1)
	v_lshrrev_b32_e32 v0, 16, v5
	s_waitcnt vmcnt(0)
	v_mul_f16_sdwa v1, v29, v0 dst_sel:DWORD dst_unused:UNUSED_PAD src0_sel:WORD_1 src1_sel:DWORD
	v_mul_f16_sdwa v2, v29, v5 dst_sel:DWORD dst_unused:UNUSED_PAD src0_sel:WORD_1 src1_sel:DWORD
	v_fma_f16 v1, v29, v5, v1
	v_fma_f16 v0, v29, v0, -v2
	v_pack_b32_f16 v0, v1, v0
	ds_write_b32 v54, v0 offset:5760
.LBB0_3:
	s_or_b64 exec, exec, s[8:9]
	s_load_dwordx2 s[2:3], s[4:5], 0x20
	s_load_dwordx2 s[14:15], s[4:5], 0x8
	v_mov_b32_e32 v0, 0
	s_waitcnt lgkmcnt(0)
	s_barrier
	s_waitcnt lgkmcnt(0)
                                        ; implicit-def: $vgpr17
                                        ; implicit-def: $vgpr11
                                        ; implicit-def: $vgpr9
                                        ; implicit-def: $vgpr7
                                        ; implicit-def: $vgpr5
                                        ; implicit-def: $vgpr3
                                        ; implicit-def: $vgpr14
                                        ; implicit-def: $vgpr16
                                        ; implicit-def: $vgpr43
	s_and_saveexec_b64 s[4:5], s[0:1]
	s_cbranch_execz .LBB0_5
; %bb.4:
	v_add_u32_e32 v2, 0x200, v54
	ds_read2_b32 v[15:16], v2 offset0:52 offset1:142
	v_add_u32_e32 v2, 0x400, v54
	ds_read2_b32 v[13:14], v2 offset0:104 offset1:194
	v_add_u32_e32 v2, 0x800, v54
	v_add_u32_e32 v4, 0xa00, v54
	;; [unrolled: 1-line block ×5, first 2 shown]
	ds_read2_b32 v[0:1], v54 offset1:90
	ds_read2_b32 v[2:3], v2 offset0:28 offset1:118
	ds_read2_b32 v[4:5], v4 offset0:80 offset1:170
	;; [unrolled: 1-line block ×5, first 2 shown]
	ds_read_b32 v17, v54 offset:5760
	s_waitcnt lgkmcnt(8)
	v_alignbit_b32 v43, v15, v15, 16
.LBB0_5:
	s_or_b64 exec, exec, s[4:5]
	s_waitcnt lgkmcnt(0)
	v_pk_add_f16 v18, v1, v17 neg_lo:[0,1] neg_hi:[0,1]
	s_mov_b32 s26, 0xb5c8
	v_pk_add_f16 v20, v17, v1
	s_movk_i32 s8, 0x3b76
	v_mul_f16_sdwa v44, v18, s26 dst_sel:DWORD dst_unused:UNUSED_PAD src0_sel:WORD_1 src1_sel:DWORD
	s_mov_b32 s29, 0xb964
	v_pk_add_f16 v19, v11, v43 op_sel:[1,0] op_sel_hi:[0,1]
	v_pk_add_f16 v22, v43, v11 op_sel:[1,0] op_sel_hi:[0,1] neg_lo:[0,1] neg_hi:[0,1]
	v_fma_f16 v12, v20, s8, v44
	v_lshrrev_b32_e32 v33, 16, v20
	s_movk_i32 s9, 0x39e9
	v_mul_f16_e32 v50, 0xb964, v18
	v_lshrrev_b32_e32 v30, 16, v19
	v_mul_f16_sdwa v47, v22, s29 dst_sel:DWORD dst_unused:UNUSED_PAD src0_sel:WORD_1 src1_sel:DWORD
	v_add_f16_e32 v12, v12, v0
	v_fma_f16 v15, v33, s9, -v50
	v_fma_f16 v21, v30, s9, v47
	s_movk_i32 s10, 0x2de8
	v_mul_f16_e32 v52, 0xbbf7, v22
	v_add_f16_sdwa v15, v15, v0 dst_sel:DWORD dst_unused:UNUSED_PAD src0_sel:DWORD src1_sel:WORD_1
	v_add_f16_e32 v12, v21, v12
	v_fma_f16 v21, v19, s10, -v52
	v_add_f16_e32 v15, v21, v15
	v_pk_add_f16 v21, v16, v10 neg_lo:[0,1] neg_hi:[0,1]
	s_mov_b32 s28, 0xbb29
	v_pk_add_f16 v25, v10, v16
	s_movk_i32 s11, 0x3722
	v_mul_f16_sdwa v48, v21, s28 dst_sel:DWORD dst_unused:UNUSED_PAD src0_sel:WORD_1 src1_sel:DWORD
	v_fma_f16 v23, v25, s11, v48
	v_lshrrev_b32_e32 v37, 16, v25
	s_mov_b32 s16, 0xb8d2
	v_mul_f16_e32 v53, 0xba62, v21
	v_add_f16_e32 v12, v23, v12
	v_fma_f16 v23, v37, s16, -v53
	s_mov_b32 s27, 0xbbf7
	v_add_f16_e32 v15, v23, v15
	v_pk_add_f16 v23, v13, v9 neg_lo:[0,1] neg_hi:[0,1]
	v_pk_add_f16 v27, v9, v13
	v_mul_f16_sdwa v49, v23, s27 dst_sel:DWORD dst_unused:UNUSED_PAD src0_sel:WORD_1 src1_sel:DWORD
	v_fma_f16 v26, v27, s10, v49
	v_lshrrev_b32_e32 v38, 16, v27
	s_mov_b32 s20, 0xbbdd
	v_mul_f16_e32 v58, 0xb1e1, v23
	v_add_f16_e32 v12, v26, v12
	v_fma_f16 v26, v38, s20, -v58
	v_add_f16_e32 v15, v26, v15
	v_pk_add_f16 v26, v14, v8 neg_lo:[0,1] neg_hi:[0,1]
	s_mov_b32 s17, 0xbbb2
	v_pk_add_f16 v29, v8, v14
	s_mov_b32 s18, 0xb461
	v_mul_f16_sdwa v51, v26, s17 dst_sel:DWORD dst_unused:UNUSED_PAD src0_sel:WORD_1 src1_sel:DWORD
	v_fma_f16 v28, v29, s18, v51
	s_mov_b32 s21, 0xbacd
	v_lshrrev_b32_e32 v39, 16, v29
	v_mul_f16_e32 v60, 0x3836, v26
	v_add_f16_e32 v12, v28, v12
	v_fma_f16 v28, v39, s21, -v60
	v_add_f16_e32 v15, v28, v15
	s_mov_b32 s19, 0xba62
	v_pk_add_f16 v28, v2, v7 neg_lo:[0,1] neg_hi:[0,1]
	v_pk_add_f16 v32, v7, v2
	v_mul_f16_sdwa v57, v28, s19 dst_sel:DWORD dst_unused:UNUSED_PAD src0_sel:WORD_1 src1_sel:DWORD
	v_fma_f16 v31, v32, s16, v57
	v_lshrrev_b32_e32 v40, 16, v32
	v_mul_f16_e32 v61, 0x3bb2, v28
	v_add_f16_e32 v12, v31, v12
	v_fma_f16 v31, v40, s18, -v61
	v_add_f16_e32 v15, v31, v15
	s_mov_b32 s22, 0xb836
	v_pk_add_f16 v31, v3, v6 neg_lo:[0,1] neg_hi:[0,1]
	v_pk_add_f16 v35, v6, v3
	v_mul_f16_sdwa v59, v31, s22 dst_sel:DWORD dst_unused:UNUSED_PAD src0_sel:WORD_1 src1_sel:DWORD
	v_fma_f16 v34, v35, s21, v59
	v_lshrrev_b32_e32 v41, 16, v35
	v_mul_f16_e32 v62, 0x3b29, v31
	v_add_f16_e32 v12, v34, v12
	v_fma_f16 v34, v41, s11, -v62
	v_add_f16_e32 v15, v34, v15
	v_pk_add_f16 v36, v5, v4
	v_pk_add_f16 v34, v4, v5 neg_lo:[0,1] neg_hi:[0,1]
	v_lshrrev_b32_e32 v42, 16, v36
	v_mul_f16_e32 v63, 0x35c8, v34
	v_fma_f16 v45, v42, s8, -v63
	s_mov_b32 s4, 0x3b7639e9
	v_add_f16_e32 v45, v45, v15
	s_mov_b32 s5, 0xb964b5c8
	v_pk_mul_f16 v15, v20, s4
	v_pk_fma_f16 v64, v18, s5, v15 op_sel:[0,0,1] op_sel_hi:[1,1,0] neg_lo:[1,0,0] neg_hi:[1,0,0]
	v_pk_fma_f16 v65, v18, s5, v15 op_sel:[0,0,1] op_sel_hi:[1,1,0]
	s_mov_b32 s5, 0xbbf7b964
	s_mov_b32 s4, 0x2de839e9
	v_pk_mul_f16 v15, v22, s5
	v_pk_fma_f16 v66, v19, s4, v15 neg_lo:[0,0,1] neg_hi:[0,0,1]
	v_pk_fma_f16 v67, v19, s4, v15
	s_mov_b32 s4, 0x3722b8d2
	s_mov_b32 s5, 0xba62bb29
	v_pk_mul_f16 v15, v25, s4
	s_mov_b32 s4, 0x2de8bbdd
	v_pk_fma_f16 v69, v21, s5, v15 op_sel:[0,0,1] op_sel_hi:[1,1,0] neg_lo:[1,0,0] neg_hi:[1,0,0]
	v_pk_fma_f16 v70, v21, s5, v15 op_sel:[0,0,1] op_sel_hi:[1,1,0]
	s_mov_b32 s5, 0xb1e1bbf7
	v_pk_mul_f16 v15, v27, s4
	s_mov_b32 s4, 0xb461bacd
	v_pk_fma_f16 v71, v23, s5, v15 op_sel:[0,0,1] op_sel_hi:[1,1,0] neg_lo:[1,0,0] neg_hi:[1,0,0]
	v_pk_fma_f16 v72, v23, s5, v15 op_sel:[0,0,1] op_sel_hi:[1,1,0]
	s_mov_b32 s5, 0x3836bbb2
	v_pk_mul_f16 v15, v29, s4
	s_mov_b32 s4, 0xb8d2b461
	s_mov_b32 s23, 0xb1e1
	v_pk_fma_f16 v73, v26, s5, v15 op_sel:[0,0,1] op_sel_hi:[1,1,0] neg_lo:[1,0,0] neg_hi:[1,0,0]
	v_pk_fma_f16 v74, v26, s5, v15 op_sel:[0,0,1] op_sel_hi:[1,1,0]
	s_mov_b32 s5, 0x3bb2ba62
	v_pk_mul_f16 v15, v32, s4
	s_mov_b32 s4, 0xbacd3722
	v_pk_fma_f16 v75, v28, s5, v15 op_sel:[0,0,1] op_sel_hi:[1,1,0] neg_lo:[1,0,0] neg_hi:[1,0,0]
	v_pk_fma_f16 v76, v28, s5, v15 op_sel:[0,0,1] op_sel_hi:[1,1,0]
	s_mov_b32 s5, 0x3b29b836
	v_pk_mul_f16 v15, v35, s4
	v_mul_f16_sdwa v68, v34, s23 dst_sel:DWORD dst_unused:UNUSED_PAD src0_sel:WORD_1 src1_sel:DWORD
	v_pk_fma_f16 v77, v31, s5, v15 op_sel:[0,0,1] op_sel_hi:[1,1,0] neg_lo:[1,0,0] neg_hi:[1,0,0]
	v_pk_fma_f16 v78, v31, s5, v15 op_sel:[0,0,1] op_sel_hi:[1,1,0]
	v_fma_f16 v15, v36, s20, v68
	v_add_f16_e32 v12, v15, v12
	v_add_f16_sdwa v15, v64, v0 dst_sel:DWORD dst_unused:UNUSED_PAD src0_sel:DWORD src1_sel:WORD_1
	v_add_f16_e32 v15, v66, v15
	v_add_f16_e32 v15, v69, v15
	;; [unrolled: 1-line block ×3, first 2 shown]
	s_mov_b32 s4, 0xbbdd3b76
	v_add_f16_e32 v15, v73, v15
	s_mov_b32 s5, 0x35c8b1e1
	v_add_f16_e32 v15, v75, v15
	v_pk_mul_f16 v56, v36, s4
	v_add_f16_e32 v15, v77, v15
	v_pk_fma_f16 v79, v34, s5, v56 op_sel:[0,0,1] op_sel_hi:[1,1,0] neg_lo:[1,0,0] neg_hi:[1,0,0]
	v_add_f16_e32 v46, v79, v15
	v_add_f16_sdwa v15, v65, v0 dst_sel:DWORD dst_unused:UNUSED_PAD src0_sel:WORD_1 src1_sel:DWORD
	v_add_f16_sdwa v15, v67, v15 dst_sel:DWORD dst_unused:UNUSED_PAD src0_sel:WORD_1 src1_sel:DWORD
	;; [unrolled: 1-line block ×6, first 2 shown]
	v_pk_fma_f16 v80, v34, s5, v56 op_sel:[0,0,1] op_sel_hi:[1,1,0]
	v_add_f16_sdwa v15, v78, v15 dst_sel:DWORD dst_unused:UNUSED_PAD src0_sel:WORD_1 src1_sel:DWORD
	s_movk_i32 s31, 0x3836
	s_movk_i32 s30, 0x3bb2
	s_movk_i32 s24, 0x3b29
	s_movk_i32 s25, 0x35c8
	v_add_f16_sdwa v15, v80, v15 dst_sel:DWORD dst_unused:UNUSED_PAD src0_sel:WORD_1 src1_sel:DWORD
	v_mul_lo_u16_e32 v24, 17, v55
	s_barrier
	s_and_saveexec_b64 s[4:5], s[0:1]
	s_cbranch_execz .LBB0_7
; %bb.6:
	v_alignbit_b32 v81, v43, v43, 16
	v_alignbit_b32 v43, v0, v0, 16
	v_pk_add_f16 v1, v1, v43 op_sel:[0,1] op_sel_hi:[1,0]
	v_pk_add_f16 v1, v81, v1
	v_pk_add_f16 v1, v16, v1
	;; [unrolled: 1-line block ×3, first 2 shown]
	v_mul_f16_e32 v13, 0xb836, v18
	v_pk_add_f16 v1, v14, v1
	v_fma_f16 v14, v33, s21, v13
	v_mul_f16_e32 v16, 0x3b29, v22
	v_add_f16_sdwa v14, v14, v0 dst_sel:DWORD dst_unused:UNUSED_PAD src0_sel:DWORD src1_sel:WORD_1
	v_fma_f16 v81, v19, s11, v16
	v_add_f16_e32 v14, v81, v14
	v_mul_f16_e32 v81, 0xbbf7, v21
	v_fma_f16 v82, v37, s10, v81
	v_add_f16_e32 v14, v82, v14
	v_mul_f16_e32 v82, 0x3a62, v23
	;; [unrolled: 3-line block ×6, first 2 shown]
	v_fma_f16 v87, v42, s18, v86
	v_add_f16_e32 v14, v87, v14
	v_mul_f16_sdwa v87, v18, s22 dst_sel:DWORD dst_unused:UNUSED_PAD src0_sel:WORD_1 src1_sel:DWORD
	v_fma_f16 v88, v20, s21, -v87
	v_mul_f16_sdwa v89, v22, s24 dst_sel:DWORD dst_unused:UNUSED_PAD src0_sel:WORD_1 src1_sel:DWORD
	v_add_f16_e32 v88, v88, v0
	v_fma_f16 v90, v30, s11, -v89
	v_add_f16_e32 v88, v90, v88
	v_mul_f16_sdwa v90, v21, s27 dst_sel:DWORD dst_unused:UNUSED_PAD src0_sel:WORD_1 src1_sel:DWORD
	v_fma_f16 v91, v25, s10, -v90
	s_movk_i32 s35, 0x3a62
	v_add_f16_e32 v88, v91, v88
	v_mul_f16_sdwa v91, v23, s35 dst_sel:DWORD dst_unused:UNUSED_PAD src0_sel:WORD_1 src1_sel:DWORD
	v_fma_f16 v92, v27, s16, -v91
	v_add_f16_e32 v88, v92, v88
	v_mul_f16_sdwa v92, v26, s26 dst_sel:DWORD dst_unused:UNUSED_PAD src0_sel:WORD_1 src1_sel:DWORD
	v_fma_f16 v93, v29, s8, -v92
	;; [unrolled: 3-line block ×3, first 2 shown]
	s_movk_i32 s33, 0x3964
	v_add_f16_e32 v88, v94, v88
	v_mul_f16_sdwa v94, v31, s33 dst_sel:DWORD dst_unused:UNUSED_PAD src0_sel:WORD_1 src1_sel:DWORD
	v_fma_f16 v95, v35, s9, -v94
	v_add_f16_e32 v88, v95, v88
	v_mul_f16_sdwa v95, v34, s17 dst_sel:DWORD dst_unused:UNUSED_PAD src0_sel:WORD_1 src1_sel:DWORD
	v_fma_f16 v96, v36, s18, -v95
	v_add_f16_e32 v88, v96, v88
	v_mul_f16_e32 v96, 0xba62, v18
	v_fma_f16 v97, v33, s16, v96
	v_mul_f16_e32 v98, 0x3bb2, v22
	v_add_f16_sdwa v97, v97, v0 dst_sel:DWORD dst_unused:UNUSED_PAD src0_sel:DWORD src1_sel:WORD_1
	v_fma_f16 v99, v19, s18, v98
	v_add_f16_e32 v97, v99, v97
	v_mul_f16_e32 v99, 0xb5c8, v21
	v_fma_f16 v100, v37, s8, v99
	v_add_f16_e32 v97, v100, v97
	v_mul_f16_e32 v100, 0xb836, v23
	;; [unrolled: 3-line block ×6, first 2 shown]
	v_fma_f16 v105, v42, s11, v104
	v_add_f16_e32 v97, v105, v97
	v_mul_f16_sdwa v105, v18, s19 dst_sel:DWORD dst_unused:UNUSED_PAD src0_sel:WORD_1 src1_sel:DWORD
	v_fma_f16 v106, v20, s16, -v105
	v_mul_f16_sdwa v107, v22, s30 dst_sel:DWORD dst_unused:UNUSED_PAD src0_sel:WORD_1 src1_sel:DWORD
	v_add_f16_e32 v106, v106, v0
	v_fma_f16 v108, v30, s18, -v107
	v_add_f16_e32 v106, v108, v106
	v_mul_f16_sdwa v108, v21, s26 dst_sel:DWORD dst_unused:UNUSED_PAD src0_sel:WORD_1 src1_sel:DWORD
	v_fma_f16 v109, v25, s8, -v108
	v_add_f16_e32 v106, v109, v106
	v_mul_f16_sdwa v109, v23, s22 dst_sel:DWORD dst_unused:UNUSED_PAD src0_sel:WORD_1 src1_sel:DWORD
	v_fma_f16 v110, v27, s21, -v109
	s_movk_i32 s34, 0x3bf7
	v_add_f16_e32 v106, v110, v106
	v_mul_f16_sdwa v110, v26, s34 dst_sel:DWORD dst_unused:UNUSED_PAD src0_sel:WORD_1 src1_sel:DWORD
	v_fma_f16 v111, v29, s10, -v110
	v_add_f16_e32 v106, v111, v106
	v_mul_f16_sdwa v111, v28, s29 dst_sel:DWORD dst_unused:UNUSED_PAD src0_sel:WORD_1 src1_sel:DWORD
	v_fma_f16 v112, v32, s9, -v111
	;; [unrolled: 3-line block ×4, first 2 shown]
	v_add_f16_e32 v106, v114, v106
	v_mul_f16_e32 v114, 0xbbb2, v18
	v_fma_f16 v115, v33, s18, v114
	v_mul_f16_e32 v116, 0x3836, v22
	v_add_f16_sdwa v115, v115, v0 dst_sel:DWORD dst_unused:UNUSED_PAD src0_sel:DWORD src1_sel:WORD_1
	v_fma_f16 v117, v19, s21, v116
	v_add_f16_e32 v115, v117, v115
	v_mul_f16_e32 v117, 0x3964, v21
	v_fma_f16 v118, v37, s9, v117
	v_add_f16_e32 v115, v118, v115
	v_mul_f16_e32 v118, 0xbb29, v23
	v_fma_f16 v119, v38, s11, v118
	v_add_f16_e32 v115, v119, v115
	v_mul_f16_e32 v119, 0xb1e1, v26
	v_fma_f16 v120, v39, s20, v119
	v_add_f16_e32 v115, v120, v115
	v_mul_f16_e32 v120, 0x3bf7, v28
	v_fma_f16 v121, v40, s10, v120
	v_add_f16_e32 v115, v121, v115
	v_mul_f16_e32 v121, 0xb5c8, v31
	v_fma_f16 v122, v41, s8, v121
	v_add_f16_e32 v115, v122, v115
	v_mul_f16_e32 v122, 0xba62, v34
	v_fma_f16 v123, v42, s16, v122
	v_add_f16_e32 v115, v123, v115
	v_mul_f16_sdwa v123, v18, s17 dst_sel:DWORD dst_unused:UNUSED_PAD src0_sel:WORD_1 src1_sel:DWORD
	v_fma_f16 v124, v20, s18, -v123
	v_mul_f16_sdwa v125, v22, s31 dst_sel:DWORD dst_unused:UNUSED_PAD src0_sel:WORD_1 src1_sel:DWORD
	v_add_f16_e32 v124, v124, v0
	v_fma_f16 v126, v30, s21, -v125
	v_add_f16_e32 v124, v126, v124
	v_mul_f16_sdwa v126, v21, s33 dst_sel:DWORD dst_unused:UNUSED_PAD src0_sel:WORD_1 src1_sel:DWORD
	v_fma_f16 v127, v25, s9, -v126
	v_add_f16_e32 v124, v127, v124
	v_mul_f16_sdwa v127, v23, s28 dst_sel:DWORD dst_unused:UNUSED_PAD src0_sel:WORD_1 src1_sel:DWORD
	;; [unrolled: 3-line block ×6, first 2 shown]
	v_fma_f16 v132, v36, s16, -v131
	v_add_f16_e32 v124, v132, v124
	v_mul_f16_e32 v132, 0xbbf7, v18
	v_fma_f16 v133, v33, s10, v132
	v_mul_f16_e32 v134, 0xb1e1, v22
	v_add_f16_sdwa v133, v133, v0 dst_sel:DWORD dst_unused:UNUSED_PAD src0_sel:DWORD src1_sel:WORD_1
	v_fma_f16 v135, v19, s20, v134
	v_add_f16_e32 v133, v135, v133
	v_mul_f16_e32 v135, 0x3bb2, v21
	v_fma_f16 v136, v37, s18, v135
	v_add_f16_e32 v133, v136, v133
	v_mul_f16_e32 v136, 0x35c8, v23
	;; [unrolled: 3-line block ×6, first 2 shown]
	v_fma_f16 v141, v42, s9, v140
	v_add_f16_e32 v133, v141, v133
	v_mul_f16_sdwa v141, v18, s27 dst_sel:DWORD dst_unused:UNUSED_PAD src0_sel:WORD_1 src1_sel:DWORD
	v_fma_f16 v142, v20, s10, -v141
	v_mul_f16_sdwa v143, v22, s23 dst_sel:DWORD dst_unused:UNUSED_PAD src0_sel:WORD_1 src1_sel:DWORD
	v_add_f16_e32 v142, v142, v0
	v_fma_f16 v144, v30, s20, -v143
	v_add_f16_e32 v142, v144, v142
	v_mul_f16_sdwa v144, v21, s30 dst_sel:DWORD dst_unused:UNUSED_PAD src0_sel:WORD_1 src1_sel:DWORD
	v_fma_f16 v145, v25, s18, -v144
	v_add_f16_e32 v142, v145, v142
	v_mul_f16_sdwa v145, v23, s25 dst_sel:DWORD dst_unused:UNUSED_PAD src0_sel:WORD_1 src1_sel:DWORD
	;; [unrolled: 3-line block ×6, first 2 shown]
	v_fma_f16 v150, v36, s9, -v149
	v_add_f16_e32 v142, v150, v142
	v_mul_f16_e32 v150, 0xbb29, v18
	v_fma_f16 v151, v33, s11, v150
	v_mul_f16_e32 v152, 0xba62, v22
	v_add_f16_sdwa v151, v151, v0 dst_sel:DWORD dst_unused:UNUSED_PAD src0_sel:DWORD src1_sel:WORD_1
	v_fma_f16 v153, v19, s16, v152
	v_add_f16_e32 v151, v153, v151
	v_mul_f16_e32 v153, 0x31e1, v21
	v_fma_f16 v154, v37, s20, v153
	v_add_f16_e32 v151, v154, v151
	v_mul_f16_e32 v154, 0x3bb2, v23
	;; [unrolled: 3-line block ×6, first 2 shown]
	v_fma_f16 v159, v42, s21, v158
	v_add_f16_e32 v151, v159, v151
	v_mul_f16_sdwa v159, v18, s28 dst_sel:DWORD dst_unused:UNUSED_PAD src0_sel:WORD_1 src1_sel:DWORD
	v_fma_f16 v160, v20, s11, -v159
	v_mul_f16_sdwa v161, v22, s19 dst_sel:DWORD dst_unused:UNUSED_PAD src0_sel:WORD_1 src1_sel:DWORD
	v_add_f16_e32 v160, v160, v0
	v_fma_f16 v162, v30, s16, -v161
	s_movk_i32 s28, 0x31e1
	v_add_f16_e32 v160, v162, v160
	v_mul_f16_sdwa v162, v21, s28 dst_sel:DWORD dst_unused:UNUSED_PAD src0_sel:WORD_1 src1_sel:DWORD
	v_fma_f16 v163, v25, s20, -v162
	v_add_f16_e32 v160, v163, v160
	v_mul_f16_sdwa v163, v23, s30 dst_sel:DWORD dst_unused:UNUSED_PAD src0_sel:WORD_1 src1_sel:DWORD
	v_fma_f16 v164, v27, s18, -v163
	v_add_f16_e32 v160, v164, v160
	v_mul_f16_sdwa v164, v26, s33 dst_sel:DWORD dst_unused:UNUSED_PAD src0_sel:WORD_1 src1_sel:DWORD
	v_fma_f16 v165, v29, s9, -v164
	v_add_f16_e32 v160, v165, v160
	v_mul_f16_sdwa v165, v28, s26 dst_sel:DWORD dst_unused:UNUSED_PAD src0_sel:WORD_1 src1_sel:DWORD
	v_fma_f16 v166, v32, s8, -v165
	v_add_f16_e32 v160, v166, v160
	v_mul_f16_sdwa v166, v31, s27 dst_sel:DWORD dst_unused:UNUSED_PAD src0_sel:WORD_1 src1_sel:DWORD
	v_fma_f16 v167, v35, s10, -v166
	v_add_f16_e32 v160, v167, v160
	v_mul_f16_sdwa v167, v34, s22 dst_sel:DWORD dst_unused:UNUSED_PAD src0_sel:WORD_1 src1_sel:DWORD
	v_fma_f16 v168, v36, s21, -v167
	v_add_f16_e32 v160, v168, v160
	v_mul_f16_e32 v168, 0x39e9, v33
	v_add_f16_e32 v50, v50, v168
	v_mul_f16_e32 v168, 0x2de8, v19
	v_add_f16_e32 v52, v52, v168
	v_add_f16_sdwa v50, v50, v0 dst_sel:DWORD dst_unused:UNUSED_PAD src0_sel:DWORD src1_sel:WORD_1
	v_add_f16_e32 v50, v52, v50
	v_mul_f16_e32 v52, 0xb8d2, v37
	v_add_f16_e32 v52, v53, v52
	v_add_f16_e32 v50, v52, v50
	v_mul_f16_e32 v52, 0xbbdd, v38
	v_add_f16_e32 v52, v58, v52
	;; [unrolled: 3-line block ×6, first 2 shown]
	s_mov_b32 s26, 0xffff
	v_add_f16_e32 v50, v52, v50
	v_bfi_b32 v52, s26, v65, v64
	v_mul_f16_e32 v65, 0x3b76, v20
	v_sub_f16_e32 v44, v65, v44
	v_mul_f16_e32 v65, 0x39e9, v30
	v_sub_f16_e32 v47, v65, v47
	v_add_f16_e32 v44, v44, v0
	v_add_f16_e32 v44, v47, v44
	v_mul_f16_e32 v47, 0x3722, v25
	v_sub_f16_e32 v47, v47, v48
	v_add_f16_e32 v44, v47, v44
	v_mul_f16_e32 v47, 0x2de8, v27
	v_sub_f16_e32 v47, v47, v49
	v_fma_f16 v13, v33, s21, -v13
	v_add_f16_e32 v44, v47, v44
	v_mul_f16_e32 v47, 0xb461, v29
	v_add_f16_sdwa v13, v13, v0 dst_sel:DWORD dst_unused:UNUSED_PAD src0_sel:DWORD src1_sel:WORD_1
	v_fma_f16 v16, v19, s11, -v16
	v_sub_f16_e32 v47, v47, v51
	v_add_f16_e32 v13, v16, v13
	v_fma_f16 v16, v37, s10, -v81
	v_add_f16_e32 v44, v47, v44
	v_mul_f16_e32 v47, 0xb8d2, v32
	v_add_f16_e32 v13, v16, v13
	v_fma_f16 v16, v38, s16, -v82
	v_sub_f16_e32 v47, v47, v57
	v_add_f16_e32 v13, v16, v13
	v_fma_f16 v16, v39, s8, -v83
	v_add_f16_e32 v44, v47, v44
	v_mul_f16_e32 v47, 0xbacd, v35
	v_add_f16_e32 v13, v16, v13
	v_fma_f16 v16, v40, s20, -v84
	v_sub_f16_e32 v47, v47, v59
	v_add_f16_e32 v13, v16, v13
	v_fma_f16 v16, v41, s9, -v85
	v_add_f16_e32 v44, v47, v44
	v_mul_f16_e32 v47, 0xbbdd, v36
	v_add_f16_e32 v13, v16, v13
	v_fma_f16 v16, v42, s18, -v86
	v_sub_f16_e32 v47, v47, v68
	v_add_f16_e32 v13, v16, v13
	v_fma_f16 v16, v20, s21, v87
	v_add_f16_e32 v44, v47, v44
	v_add_f16_e32 v16, v16, v0
	v_fma_f16 v47, v30, s11, v89
	v_add_f16_e32 v16, v47, v16
	v_fma_f16 v47, v25, s10, v90
	v_add_f16_e32 v16, v47, v16
	v_fma_f16 v47, v27, s16, v91
	v_add_f16_e32 v16, v47, v16
	v_fma_f16 v47, v29, s8, v92
	v_add_f16_e32 v16, v47, v16
	v_fma_f16 v47, v32, s20, v93
	v_add_f16_e32 v16, v47, v16
	v_fma_f16 v47, v35, s9, v94
	v_add_f16_e32 v16, v47, v16
	v_fma_f16 v47, v36, s18, v95
	v_add_f16_e32 v16, v47, v16
	v_fma_f16 v47, v33, s16, -v96
	v_add_f16_sdwa v47, v47, v0 dst_sel:DWORD dst_unused:UNUSED_PAD src0_sel:DWORD src1_sel:WORD_1
	v_fma_f16 v48, v19, s18, -v98
	v_add_f16_e32 v47, v48, v47
	v_fma_f16 v48, v37, s8, -v99
	v_add_f16_e32 v47, v48, v47
	v_fma_f16 v48, v38, s21, -v100
	v_add_f16_e32 v47, v48, v47
	v_fma_f16 v48, v39, s10, -v101
	v_add_f16_e32 v47, v48, v47
	v_fma_f16 v48, v40, s9, -v102
	v_add_f16_e32 v47, v48, v47
	v_fma_f16 v48, v41, s20, -v103
	v_add_f16_e32 v47, v48, v47
	v_fma_f16 v48, v42, s11, -v104
	v_add_f16_e32 v47, v48, v47
	v_fma_f16 v48, v20, s16, v105
	v_add_f16_e32 v48, v48, v0
	v_fma_f16 v49, v30, s18, v107
	v_add_f16_e32 v48, v49, v48
	v_fma_f16 v49, v25, s8, v108
	v_add_f16_e32 v48, v49, v48
	v_fma_f16 v49, v27, s21, v109
	v_add_f16_e32 v48, v49, v48
	v_fma_f16 v49, v29, s10, v110
	v_add_f16_e32 v48, v49, v48
	v_fma_f16 v49, v32, s9, v111
	v_add_f16_e32 v48, v49, v48
	v_fma_f16 v49, v35, s20, v112
	v_add_f16_e32 v48, v49, v48
	v_fma_f16 v49, v36, s11, v113
	v_add_f16_e32 v48, v49, v48
	v_fma_f16 v49, v33, s18, -v114
	v_add_f16_sdwa v49, v49, v0 dst_sel:DWORD dst_unused:UNUSED_PAD src0_sel:DWORD src1_sel:WORD_1
	v_fma_f16 v51, v19, s21, -v116
	v_add_f16_e32 v49, v51, v49
	v_fma_f16 v51, v37, s9, -v117
	v_add_f16_e32 v49, v51, v49
	v_fma_f16 v51, v38, s11, -v118
	v_add_f16_e32 v49, v51, v49
	v_fma_f16 v51, v39, s20, -v119
	v_add_f16_e32 v49, v51, v49
	v_fma_f16 v51, v40, s10, -v120
	v_add_f16_e32 v49, v51, v49
	v_fma_f16 v51, v41, s8, -v121
	v_add_f16_e32 v49, v51, v49
	v_fma_f16 v51, v42, s16, -v122
	v_add_f16_e32 v49, v51, v49
	v_fma_f16 v51, v20, s18, v123
	;; [unrolled: 32-line block ×3, first 2 shown]
	v_add_f16_e32 v59, v59, v0
	v_fma_f16 v65, v30, s20, v143
	v_add_f16_e32 v59, v65, v59
	v_fma_f16 v65, v25, s18, v144
	v_add_f16_e32 v59, v65, v59
	v_fma_f16 v65, v27, s8, v145
	v_add_f16_e32 v59, v65, v59
	v_fma_f16 v65, v29, s11, v146
	v_add_f16_e32 v59, v65, v59
	v_fma_f16 v65, v32, s21, v147
	v_add_f16_e32 v59, v65, v59
	v_fma_f16 v65, v35, s16, v148
	v_add_f16_e32 v59, v65, v59
	v_fma_f16 v65, v36, s9, v149
	v_fma_f16 v33, v33, s11, -v150
	v_add_f16_e32 v59, v65, v59
	v_add_f16_sdwa v33, v33, v0 dst_sel:DWORD dst_unused:UNUSED_PAD src0_sel:DWORD src1_sel:WORD_1
	v_fma_f16 v65, v19, s16, -v152
	v_add_f16_e32 v33, v65, v33
	v_fma_f16 v37, v37, s20, -v153
	v_add_f16_e32 v33, v37, v33
	;; [unrolled: 2-line block ×6, first 2 shown]
	v_fma_f16 v37, v42, s21, -v158
	v_bfi_b32 v53, s26, v67, v66
	v_add_f16_e32 v33, v37, v33
	v_fma_f16 v37, v20, s11, v159
	v_pk_add_f16 v1, v2, v1
	v_pk_add_f16 v2, v52, v43
	v_bfi_b32 v58, s26, v70, v69
	v_add_f16_e32 v0, v37, v0
	v_fma_f16 v30, v30, s16, v161
	v_pk_add_f16 v2, v53, v2
	v_bfi_b32 v60, s26, v72, v71
	v_add_f16_e32 v0, v30, v0
	v_fma_f16 v30, v25, s20, v162
	v_pk_add_f16 v1, v3, v1
	v_pk_add_f16 v2, v58, v2
	v_bfi_b32 v61, s26, v74, v73
	v_add_f16_e32 v0, v30, v0
	v_fma_f16 v30, v27, s18, v163
	v_pk_add_f16 v1, v4, v1
	;; [unrolled: 5-line block ×5, first 2 shown]
	v_pk_add_f16 v2, v63, v2
	v_add_f16_e32 v0, v30, v0
	v_fma_f16 v30, v36, s21, v167
	v_pk_add_f16 v1, v8, v1
	v_pk_add_f16 v2, v64, v2
	v_add_f16_e32 v0, v30, v0
	v_lshlrev_b32_e32 v30, 2, v24
	v_pk_add_f16 v1, v9, v1
	v_alignbit_b32 v3, v50, v2, 16
	v_pack_b32_f16 v2, v44, v2
	v_pk_add_f16 v1, v10, v1
	ds_write2_b32 v30, v2, v3 offset0:1 offset1:2
	v_pack_b32_f16 v2, v142, v133
	v_pack_b32_f16 v3, v160, v151
	v_pk_add_f16 v1, v11, v1
	ds_write2_b32 v30, v3, v2 offset0:3 offset1:4
	v_pack_b32_f16 v2, v106, v97
	;; [unrolled: 4-line block ×3, first 2 shown]
	ds_write2_b32 v30, v1, v2 offset1:7
	v_pk_mul_f16 v1, v20, s20 op_sel_hi:[1,0]
	v_pk_fma_f16 v2, v18, s23, v1 op_sel:[0,0,1] op_sel_hi:[1,0,0] neg_lo:[1,0,0] neg_hi:[1,0,0]
	v_pk_mul_f16 v3, v22, s25 op_sel_hi:[1,0]
	v_pk_add_f16 v2, v2, v43
	v_pk_fma_f16 v4, v19, s8, v3 op_sel_hi:[1,0,1] neg_lo:[0,0,1] neg_hi:[0,0,1]
	v_pk_add_f16 v2, v4, v2
	v_pk_mul_f16 v4, v25, s21 op_sel_hi:[1,0]
	v_pk_fma_f16 v5, v21, s22, v4 op_sel:[0,0,1] op_sel_hi:[1,0,0] neg_lo:[1,0,0] neg_hi:[1,0,0]
	v_pk_add_f16 v2, v5, v2
	v_pk_mul_f16 v5, v27, s9 op_sel_hi:[1,0]
	v_pk_fma_f16 v6, v23, s33, v5 op_sel:[0,0,1] op_sel_hi:[1,0,0] neg_lo:[1,0,0] neg_hi:[1,0,0]
	v_pk_add_f16 v2, v6, v2
	v_pk_mul_f16 v6, v29, s16 op_sel_hi:[1,0]
	v_pk_fma_f16 v1, v18, s23, v1 op_sel:[0,0,1] op_sel_hi:[1,0,0]
	v_pk_fma_f16 v7, v26, s19, v6 op_sel:[0,0,1] op_sel_hi:[1,0,0] neg_lo:[1,0,0] neg_hi:[1,0,0]
	v_pk_add_f16 v1, v1, v43
	v_pk_fma_f16 v3, v19, s8, v3 op_sel_hi:[1,0,1]
	v_pk_add_f16 v2, v7, v2
	v_pk_mul_f16 v7, v32, s11 op_sel_hi:[1,0]
	v_pk_add_f16 v1, v3, v1
	v_pk_fma_f16 v3, v21, s22, v4 op_sel:[0,0,1] op_sel_hi:[1,0,0]
	v_pk_fma_f16 v8, v28, s24, v7 op_sel:[0,0,1] op_sel_hi:[1,0,0] neg_lo:[1,0,0] neg_hi:[1,0,0]
	v_pk_add_f16 v1, v3, v1
	v_pk_fma_f16 v3, v23, s33, v5 op_sel:[0,0,1] op_sel_hi:[1,0,0]
	v_pk_add_f16 v2, v8, v2
	v_pk_mul_f16 v8, v35, s18 op_sel_hi:[1,0]
	v_pk_add_f16 v1, v3, v1
	v_pk_fma_f16 v3, v26, s19, v6 op_sel:[0,0,1] op_sel_hi:[1,0,0]
	v_pk_fma_f16 v9, v31, s17, v8 op_sel:[0,0,1] op_sel_hi:[1,0,0] neg_lo:[1,0,0] neg_hi:[1,0,0]
	v_pk_add_f16 v1, v3, v1
	v_pk_fma_f16 v3, v28, s24, v7 op_sel:[0,0,1] op_sel_hi:[1,0,0]
	;; [unrolled: 7-line block ×3, first 2 shown]
	v_pk_add_f16 v2, v10, v2
	v_pk_add_f16 v1, v3, v1
	v_alignbit_b32 v3, v2, v1, 16
	v_alignbit_b32 v1, v1, v2, 16
	ds_write2_b32 v30, v1, v3 offset0:8 offset1:9
	v_pack_b32_f16 v1, v48, v47
	v_pack_b32_f16 v2, v16, v13
	ds_write2_b32 v30, v2, v1 offset0:10 offset1:11
	v_pack_b32_f16 v1, v59, v57
	v_pack_b32_f16 v2, v51, v49
	s_mov_b32 s8, 0x5040100
	ds_write2_b32 v30, v2, v1 offset0:12 offset1:13
	v_pack_b32_f16 v0, v0, v33
	v_perm_b32 v1, v45, v15, s8
	ds_write2_b32 v30, v0, v1 offset0:14 offset1:15
	v_perm_b32 v0, v46, v12, s8
	ds_write_b32 v30, v0 offset:64
.LBB0_7:
	s_or_b64 exec, exec, s[4:5]
	s_load_dwordx4 s[8:11], s[2:3], 0x0
	s_movk_i32 s2, 0x66
	v_add_co_u32_e32 v16, vcc, s2, v55
	v_addc_co_u32_e64 v17, s[2:3], 0, 0, vcc
	s_movk_i32 s2, 0xcc
	v_add_co_u32_e32 v20, vcc, s2, v55
	v_addc_co_u32_e64 v21, s[2:3], 0, 0, vcc
	s_movk_i32 s2, 0x132
	v_add_co_u32_e32 v0, vcc, s2, v55
	s_movk_i32 s2, 0xf1
	v_mul_lo_u16_sdwa v1, v55, s2 dst_sel:DWORD dst_unused:UNUSED_PAD src0_sel:BYTE_0 src1_sel:DWORD
	v_lshrrev_b16_e32 v22, 12, v1
	v_mul_lo_u16_e32 v1, 17, v22
	v_sub_u16_e32 v1, v55, v1
	v_and_b32_e32 v23, 0xff, v1
	v_lshlrev_b32_e32 v1, 3, v23
	s_waitcnt lgkmcnt(0)
	s_barrier
	global_load_dwordx2 v[25:26], v1, s[14:15]
	v_mul_lo_u16_sdwa v1, v16, s2 dst_sel:DWORD dst_unused:UNUSED_PAD src0_sel:BYTE_0 src1_sel:DWORD
	v_lshrrev_b16_e32 v35, 12, v1
	v_mul_lo_u16_e32 v1, 17, v35
	v_sub_u16_e32 v1, v16, v1
	v_and_b32_e32 v36, 0xff, v1
	v_lshlrev_b32_e32 v1, 3, v36
	s_mov_b32 s2, 0xf0f1
	global_load_dwordx2 v[27:28], v1, s[14:15]
	v_mul_u32_u24_sdwa v1, v20, s2 dst_sel:DWORD dst_unused:UNUSED_PAD src0_sel:WORD_0 src1_sel:DWORD
	v_lshrrev_b32_e32 v37, 20, v1
	v_mul_lo_u16_e32 v1, 17, v37
	v_sub_u16_e32 v38, v20, v1
	v_lshlrev_b16_e32 v1, 1, v38
	v_lshlrev_b32_e32 v1, 2, v1
	global_load_dwordx2 v[29:30], v1, s[14:15]
	v_mul_u32_u24_sdwa v1, v0, s2 dst_sel:DWORD dst_unused:UNUSED_PAD src0_sel:WORD_0 src1_sel:DWORD
	v_lshrrev_b32_e32 v39, 20, v1
	v_mul_lo_u16_e32 v1, 17, v39
	v_sub_u16_e32 v40, v0, v1
	v_lshlrev_b16_e32 v0, 1, v40
	s_movk_i32 s3, 0x198
	v_lshlrev_b32_e32 v0, 2, v0
	global_load_dwordx2 v[31:32], v0, s[14:15]
	v_add_co_u32_e32 v0, vcc, s3, v55
	v_mul_u32_u24_sdwa v1, v0, s2 dst_sel:DWORD dst_unused:UNUSED_PAD src0_sel:WORD_0 src1_sel:DWORD
	v_lshrrev_b32_e32 v41, 20, v1
	v_mul_lo_u16_e32 v1, 17, v41
	v_sub_u16_e32 v42, v0, v1
	v_lshlrev_b16_e32 v0, 1, v42
	v_lshlrev_b32_e32 v0, 2, v0
	global_load_dwordx2 v[33:34], v0, s[14:15]
	v_mov_b32_e32 v0, 2
	v_lshlrev_b32_sdwa v57, v0, v55 dst_sel:DWORD dst_unused:UNUSED_PAD src0_sel:DWORD src1_sel:WORD_0
	v_add_u32_e32 v2, 0x400, v57
	ds_read2_b32 v[2:3], v2 offset0:152 offset1:254
	v_add_u32_e32 v43, 0xe00, v57
	ds_read2_b32 v[4:5], v43 offset0:124 offset1:226
	;; [unrolled: 2-line block ×3, first 2 shown]
	s_waitcnt lgkmcnt(2)
	v_lshrrev_b32_e32 v19, 16, v3
	v_add_u32_e32 v51, 0x1200, v57
	s_waitcnt lgkmcnt(1)
	v_lshrrev_b32_e32 v44, 16, v4
	ds_read2_b32 v[10:11], v51 offset0:72 offset1:174
	s_waitcnt lgkmcnt(1)
	v_lshrrev_b32_e32 v48, 16, v6
	v_lshrrev_b32_e32 v49, 16, v5
	v_add_u32_e32 v13, 0xc00, v57
	ds_read2_b32 v[13:14], v13 offset0:48 offset1:150
	v_lshrrev_b32_e32 v53, 16, v7
	s_waitcnt lgkmcnt(1)
	v_lshrrev_b32_e32 v58, 16, v10
	ds_read_b32 v60, v57 offset:5712
	v_lshrrev_b32_e32 v62, 16, v11
	s_waitcnt lgkmcnt(1)
	v_lshrrev_b32_e32 v61, 16, v13
	ds_read2_b32 v[0:1], v57 offset1:102
	v_lshrrev_b32_e32 v64, 16, v14
	s_waitcnt lgkmcnt(1)
	v_lshrrev_b32_e32 v65, 16, v60
	s_movk_i32 s17, 0x3aee
	s_mov_b32 s16, 0xbaee
	s_waitcnt lgkmcnt(0)
	v_lshrrev_b32_e32 v18, 16, v0
	v_add_u32_e32 v50, 0x200, v57
	ds_read2_b32 v[8:9], v50 offset0:76 offset1:178
	v_lshrrev_b32_e32 v47, 16, v1
	v_lshrrev_b32_e32 v63, 16, v2
	s_waitcnt vmcnt(0) lgkmcnt(0)
	s_barrier
	v_lshrrev_b32_e32 v52, 16, v8
	v_lshrrev_b32_e32 v59, 16, v9
	v_cmp_gt_u16_e64 s[2:3], 51, v55
	v_mul_f16_sdwa v66, v19, v25 dst_sel:DWORD dst_unused:UNUSED_PAD src0_sel:DWORD src1_sel:WORD_1
	v_fma_f16 v66, v3, v25, -v66
	v_mul_f16_sdwa v3, v3, v25 dst_sel:DWORD dst_unused:UNUSED_PAD src0_sel:DWORD src1_sel:WORD_1
	v_fma_f16 v3, v19, v25, v3
	v_mul_f16_sdwa v19, v44, v26 dst_sel:DWORD dst_unused:UNUSED_PAD src0_sel:DWORD src1_sel:WORD_1
	v_fma_f16 v19, v4, v26, -v19
	v_mul_f16_sdwa v4, v4, v26 dst_sel:DWORD dst_unused:UNUSED_PAD src0_sel:DWORD src1_sel:WORD_1
	v_fma_f16 v4, v44, v26, v4
	;; [unrolled: 4-line block ×10, first 2 shown]
	v_add_f16_e32 v14, v0, v66
	v_add_f16_e32 v65, v14, v19
	;; [unrolled: 1-line block ×3, first 2 shown]
	v_fma_f16 v0, v14, -0.5, v0
	v_sub_f16_e32 v14, v3, v4
	v_fma_f16 v68, v14, s17, v0
	v_fma_f16 v0, v14, s16, v0
	v_add_f16_e32 v14, v18, v3
	v_add_f16_e32 v3, v3, v4
	v_add_f16_e32 v69, v14, v4
	v_fma_f16 v3, v3, -0.5, v18
	v_sub_f16_e32 v4, v66, v19
	v_add_f16_e32 v14, v44, v48
	v_fma_f16 v66, v4, s16, v3
	v_fma_f16 v3, v4, s17, v3
	v_add_f16_e32 v4, v1, v44
	v_fma_f16 v1, v14, -0.5, v1
	v_sub_f16_e32 v14, v6, v5
	v_fma_f16 v70, v14, s17, v1
	v_fma_f16 v1, v14, s16, v1
	v_add_f16_e32 v14, v47, v6
	v_add_f16_e32 v71, v14, v5
	v_add_f16_e32 v5, v6, v5
	v_fma_f16 v5, v5, -0.5, v47
	v_sub_f16_e32 v6, v44, v48
	v_add_f16_e32 v14, v49, v53
	v_fma_f16 v44, v6, s16, v5
	v_fma_f16 v5, v6, s17, v5
	v_add_f16_e32 v6, v8, v49
	v_fma_f16 v8, v14, -0.5, v8
	v_sub_f16_e32 v14, v7, v10
	v_fma_f16 v72, v14, s17, v8
	v_fma_f16 v8, v14, s16, v8
	v_add_f16_e32 v14, v52, v7
	v_add_f16_e32 v7, v7, v10
	v_add_f16_e32 v73, v14, v10
	v_fma_f16 v7, v7, -0.5, v52
	v_sub_f16_e32 v10, v49, v53
	v_add_f16_e32 v14, v58, v61
	v_fma_f16 v52, v10, s16, v7
	v_fma_f16 v7, v10, s17, v7
	v_add_f16_e32 v10, v9, v58
	v_fma_f16 v9, v14, -0.5, v9
	v_sub_f16_e32 v14, v13, v11
	v_add_f16_e32 v6, v6, v53
	v_fma_f16 v53, v14, s17, v9
	v_fma_f16 v9, v14, s16, v9
	v_add_f16_e32 v14, v59, v13
	v_add_f16_e32 v74, v14, v11
	v_add_f16_e32 v11, v13, v11
	v_fma_f16 v11, v11, -0.5, v59
	v_sub_f16_e32 v13, v58, v61
	v_fma_f16 v58, v13, s16, v11
	v_fma_f16 v11, v13, s17, v11
	v_add_f16_e32 v13, v2, v62
	v_add_f16_e32 v18, v13, v67
	v_add_f16_e32 v13, v62, v67
	v_fma_f16 v2, v13, -0.5, v2
	v_sub_f16_e32 v13, v64, v60
	;; [unrolled: 7-line block ×3, first 2 shown]
	v_add_f16_e32 v4, v4, v48
	v_fma_f16 v49, v13, s16, v2
	v_fma_f16 v48, v13, s17, v2
	v_mul_u32_u24_e32 v2, 51, v22
	v_add_lshl_u32 v158, v2, v23, 2
	v_pack_b32_f16 v0, v0, v3
	v_pack_b32_f16 v2, v65, v69
	;; [unrolled: 1-line block ×3, first 2 shown]
	ds_write_b32 v158, v0 offset:136
	v_mul_u32_u24_e32 v0, 51, v35
	ds_write2_b32 v158, v2, v13 offset1:17
	v_add_lshl_u32 v159, v0, v36, 2
	v_pack_b32_f16 v0, v4, v71
	v_pack_b32_f16 v2, v70, v44
	ds_write2_b32 v159, v0, v2 offset1:17
	v_pack_b32_f16 v0, v1, v5
	ds_write_b32 v159, v0 offset:136
	v_mad_legacy_u16 v0, v37, 51, v38
	v_lshlrev_b32_e32 v157, 2, v0
	v_pack_b32_f16 v0, v6, v73
	v_pack_b32_f16 v1, v72, v52
	ds_write2_b32 v157, v0, v1 offset1:17
	v_pack_b32_f16 v0, v8, v7
	v_add_f16_e32 v10, v10, v61
	ds_write_b32 v157, v0 offset:136
	v_mad_legacy_u16 v0, v39, 51, v40
	v_lshlrev_b32_e32 v160, 2, v0
	v_pack_b32_f16 v0, v10, v74
	v_pack_b32_f16 v1, v53, v58
	ds_write2_b32 v160, v0, v1 offset1:17
	v_pack_b32_f16 v0, v9, v11
	ds_write_b32 v160, v0 offset:136
	v_mad_legacy_u16 v0, v41, 51, v42
	v_lshlrev_b32_e32 v166, 2, v0
	v_pack_b32_f16 v0, v18, v47
	v_pack_b32_f16 v1, v19, v49
	ds_write2_b32 v166, v0, v1 offset1:17
	v_pack_b32_f16 v0, v14, v48
	ds_write_b32 v166, v0 offset:136
	v_add_u32_e32 v0, 0x600, v57
	s_waitcnt lgkmcnt(0)
	s_barrier
	ds_read2_b32 v[22:23], v57 offset1:102
	ds_read2_b32 v[35:36], v50 offset0:127 offset1:229
	ds_read2_b32 v[37:38], v0 offset0:126 offset1:228
	v_add_u32_e32 v0, 0xa00, v57
	ds_read2_b32 v[39:40], v0 offset0:125 offset1:227
	ds_read2_b32 v[41:42], v43 offset0:124 offset1:226
	;; [unrolled: 1-line block ×3, first 2 shown]
                                        ; implicit-def: $vgpr50
	s_and_saveexec_b64 s[4:5], s[2:3]
	s_cbranch_execz .LBB0_9
; %bb.8:
	v_add_u32_e32 v0, 0x330, v57
	ds_read2_b32 v[18:19], v0 offset1:255
	v_add_u32_e32 v0, 0xb28, v57
	ds_read2_b32 v[14:15], v0 offset1:255
	;; [unrolled: 2-line block ×3, first 2 shown]
	s_waitcnt lgkmcnt(2)
	v_lshrrev_b32_e32 v47, 16, v18
	v_lshrrev_b32_e32 v49, 16, v19
	s_waitcnt lgkmcnt(1)
	v_lshrrev_b32_e32 v48, 16, v14
	v_lshrrev_b32_e32 v45, 16, v15
	;; [unrolled: 3-line block ×3, first 2 shown]
.LBB0_9:
	s_or_b64 exec, exec, s[4:5]
	v_subrev_u32_e32 v0, 51, v55
	v_cndmask_b32_e64 v53, v0, v55, s[2:3]
	v_mul_i32_i24_e32 v0, 20, v53
	v_mul_hi_i32_i24_e32 v1, 20, v53
	v_mov_b32_e32 v2, s15
	v_add_co_u32_e32 v0, vcc, s14, v0
	v_addc_co_u32_e32 v1, vcc, v2, v1, vcc
	s_movk_i32 s4, 0xa1
	global_load_dwordx4 v[4:7], v[0:1], off offset:136
	global_load_dword v64, v[0:1], off offset:152
	v_mul_lo_u16_sdwa v0, v16, s4 dst_sel:DWORD dst_unused:UNUSED_PAD src0_sel:BYTE_0 src1_sel:DWORD
	v_lshrrev_b16_e32 v69, 13, v0
	v_mul_lo_u16_e32 v0, 51, v69
	s_mov_b32 s4, 0xa0a1
	v_sub_u16_e32 v8, v16, v0
	v_mul_u32_u24_sdwa v0, v20, s4 dst_sel:DWORD dst_unused:UNUSED_PAD src0_sel:WORD_0 src1_sel:DWORD
	v_lshrrev_b32_e32 v0, 21, v0
	v_mul_lo_u16_e32 v0, 51, v0
	v_sub_u16_e32 v73, v20, v0
	v_mul_lo_u16_e32 v0, 20, v73
	v_and_b32_e32 v74, 0xff, v8
	v_add_co_u32_e32 v51, vcc, s14, v0
	v_mad_u64_u32 v[66:67], s[4:5], v74, 20, s[14:15]
	v_addc_co_u32_e32 v52, vcc, 0, v2, vcc
	global_load_dwordx4 v[0:3], v[51:52], off offset:136
	global_load_dwordx4 v[8:11], v[66:67], off offset:136
	global_load_dword v65, v[66:67], off offset:152
	global_load_dword v58, v[51:52], off offset:152
	s_waitcnt lgkmcnt(4)
	v_lshrrev_b32_e32 v52, 16, v35
	s_waitcnt lgkmcnt(3)
	v_lshrrev_b32_e32 v66, 16, v37
	;; [unrolled: 2-line block ×5, first 2 shown]
	v_lshrrev_b32_e32 v72, 16, v36
	v_lshrrev_b32_e32 v75, 16, v38
	;; [unrolled: 1-line block ×7, first 2 shown]
	v_cmp_lt_u16_e32 vcc, 50, v55
	s_waitcnt vmcnt(0)
	s_barrier
	v_mul_f16_sdwa v79, v52, v4 dst_sel:DWORD dst_unused:UNUSED_PAD src0_sel:DWORD src1_sel:WORD_1
	v_mul_f16_sdwa v80, v35, v4 dst_sel:DWORD dst_unused:UNUSED_PAD src0_sel:DWORD src1_sel:WORD_1
	;; [unrolled: 1-line block ×7, first 2 shown]
	v_fma_f16 v35, v35, v4, -v79
	v_fma_f16 v52, v52, v4, v80
	v_fma_f16 v37, v37, v5, -v81
	v_mul_f16_sdwa v84, v39, v6 dst_sel:DWORD dst_unused:UNUSED_PAD src0_sel:DWORD src1_sel:WORD_1
	v_mul_f16_sdwa v86, v41, v7 dst_sel:DWORD dst_unused:UNUSED_PAD src0_sel:DWORD src1_sel:WORD_1
	;; [unrolled: 1-line block ×3, first 2 shown]
	v_fma_f16 v66, v66, v5, v82
	v_fma_f16 v39, v39, v6, -v83
	v_fma_f16 v41, v41, v7, -v85
	;; [unrolled: 1-line block ×3, first 2 shown]
	v_fma_f16 v67, v67, v6, v84
	v_mul_f16_sdwa v83, v38, v9 dst_sel:DWORD dst_unused:UNUSED_PAD src0_sel:DWORD src1_sel:WORD_1
	v_mul_f16_sdwa v79, v49, v0 dst_sel:DWORD dst_unused:UNUSED_PAD src0_sel:DWORD src1_sel:WORD_1
	v_mul_f16_sdwa v80, v19, v0 dst_sel:DWORD dst_unused:UNUSED_PAD src0_sel:DWORD src1_sel:WORD_1
	v_mul_f16_sdwa v81, v48, v1 dst_sel:DWORD dst_unused:UNUSED_PAD src0_sel:DWORD src1_sel:WORD_1
	v_mul_f16_sdwa v82, v14, v1 dst_sel:DWORD dst_unused:UNUSED_PAD src0_sel:DWORD src1_sel:WORD_1
	v_fma_f16 v79, v19, v0, -v79
	v_fma_f16 v49, v49, v0, v80
	v_fma_f16 v19, v14, v1, -v81
	v_mul_f16_sdwa v14, v72, v8 dst_sel:DWORD dst_unused:UNUSED_PAD src0_sel:DWORD src1_sel:WORD_1
	v_mul_f16_sdwa v80, v36, v8 dst_sel:DWORD dst_unused:UNUSED_PAD src0_sel:DWORD src1_sel:WORD_1
	;; [unrolled: 1-line block ×5, first 2 shown]
	v_fma_f16 v68, v68, v7, v86
	v_fma_f16 v70, v70, v64, v88
	v_mul_f16_sdwa v81, v75, v9 dst_sel:DWORD dst_unused:UNUSED_PAD src0_sel:DWORD src1_sel:WORD_1
	v_mul_f16_sdwa v84, v76, v10 dst_sel:DWORD dst_unused:UNUSED_PAD src0_sel:DWORD src1_sel:WORD_1
	;; [unrolled: 1-line block ×4, first 2 shown]
	v_fma_f16 v14, v36, v8, -v14
	v_fma_f16 v36, v72, v8, v80
	v_fma_f16 v72, v75, v9, v83
	;; [unrolled: 1-line block ×5, first 2 shown]
	v_mul_f16_sdwa v78, v45, v2 dst_sel:DWORD dst_unused:UNUSED_PAD src0_sel:DWORD src1_sel:WORD_1
	v_fma_f16 v78, v15, v2, -v78
	v_mul_f16_sdwa v15, v15, v2 dst_sel:DWORD dst_unused:UNUSED_PAD src0_sel:DWORD src1_sel:WORD_1
	v_fma_f16 v45, v45, v2, v15
	v_mul_f16_sdwa v15, v46, v3 dst_sel:DWORD dst_unused:UNUSED_PAD src0_sel:DWORD src1_sel:WORD_1
	v_fma_f16 v80, v12, v3, -v15
	v_mul_f16_sdwa v12, v12, v3 dst_sel:DWORD dst_unused:UNUSED_PAD src0_sel:DWORD src1_sel:WORD_1
	v_fma_f16 v46, v46, v3, v12
	v_mul_f16_sdwa v12, v50, v58 dst_sel:DWORD dst_unused:UNUSED_PAD src0_sel:DWORD src1_sel:WORD_1
	v_fma_f16 v38, v38, v9, -v81
	v_fma_f16 v81, v13, v58, -v12
	v_mul_f16_sdwa v12, v13, v58 dst_sel:DWORD dst_unused:UNUSED_PAD src0_sel:DWORD src1_sel:WORD_1
	v_add_f16_e32 v13, v37, v41
	v_fma_f16 v13, v13, -0.5, v22
	v_sub_f16_e32 v15, v66, v68
	v_fma_f16 v50, v50, v58, v12
	v_add_f16_e32 v12, v22, v37
	v_fma_f16 v22, v15, s17, v13
	v_fma_f16 v13, v15, s16, v13
	v_add_f16_e32 v15, v51, v66
	v_add_f16_e32 v66, v66, v68
	v_fma_f16 v51, v66, -0.5, v51
	v_sub_f16_e32 v37, v37, v41
	v_add_f16_e32 v66, v39, v43
	v_add_f16_e32 v12, v12, v41
	v_fma_f16 v41, v37, s16, v51
	v_fma_f16 v37, v37, s17, v51
	v_add_f16_e32 v51, v35, v39
	v_fma_f16 v35, v66, -0.5, v35
	v_sub_f16_e32 v66, v67, v70
	v_add_f16_e32 v15, v15, v68
	v_fma_f16 v68, v66, s17, v35
	v_fma_f16 v35, v66, s16, v35
	v_add_f16_e32 v66, v52, v67
	v_add_f16_e32 v67, v67, v70
	v_fma_f16 v52, v67, -0.5, v52
	v_sub_f16_e32 v39, v39, v43
	v_add_f16_e32 v51, v51, v43
	v_add_f16_e32 v66, v66, v70
	v_fma_f16 v43, v39, s16, v52
	v_fma_f16 v39, v39, s17, v52
	v_mul_f16_e32 v70, -0.5, v35
	v_fma_f16 v42, v42, v11, -v86
	v_mul_f16_e32 v67, 0x3aee, v43
	v_fma_f16 v70, v39, s17, v70
	v_fma_f16 v44, v44, v65, -v88
	v_fma_f16 v67, v68, 0.5, v67
	v_add_f16_e32 v83, v13, v70
	v_mul_f16_e32 v68, 0xbaee, v68
	v_mul_f16_e32 v39, -0.5, v39
	v_sub_f16_e32 v88, v13, v70
	v_add_f16_e32 v13, v38, v42
	v_fma_f16 v40, v40, v10, -v84
	v_add_f16_e32 v52, v12, v51
	v_fma_f16 v43, v43, 0.5, v68
	v_fma_f16 v35, v35, s16, v39
	v_sub_f16_e32 v51, v12, v51
	v_add_f16_e32 v12, v23, v38
	v_fma_f16 v13, v13, -0.5, v23
	v_add_f16_e32 v23, v72, v76
	v_add_f16_e32 v85, v41, v43
	;; [unrolled: 1-line block ×3, first 2 shown]
	v_sub_f16_e32 v41, v41, v43
	v_sub_f16_e32 v43, v37, v35
	v_fma_f16 v23, v23, -0.5, v71
	v_sub_f16_e32 v35, v38, v42
	v_add_f16_e32 v38, v40, v44
	v_add_f16_e32 v12, v12, v42
	v_fma_f16 v37, v35, s16, v23
	v_fma_f16 v23, v35, s17, v23
	v_add_f16_e32 v35, v14, v40
	v_fma_f16 v14, v38, -0.5, v14
	v_sub_f16_e32 v38, v75, v77
	v_add_f16_e32 v42, v75, v77
	v_fma_f16 v39, v38, s17, v14
	v_fma_f16 v14, v38, s16, v14
	v_add_f16_e32 v38, v36, v75
	v_fma_f16 v36, v42, -0.5, v36
	v_sub_f16_e32 v40, v40, v44
	v_fma_f16 v48, v48, v1, v82
	v_add_f16_e32 v82, v22, v67
	v_sub_f16_e32 v87, v22, v67
	v_fma_f16 v42, v40, s16, v36
	v_fma_f16 v36, v40, s17, v36
	v_mul_f16_e32 v67, -0.5, v14
	v_fma_f16 v67, v36, s17, v67
	v_mul_f16_e32 v36, -0.5, v36
	v_mul_f16_e32 v40, 0x3aee, v42
	v_fma_f16 v14, v14, s16, v36
	v_add_f16_e32 v35, v35, v44
	v_fma_f16 v40, v39, 0.5, v40
	v_mul_f16_e32 v39, 0xbaee, v39
	v_add_f16_e32 v89, v23, v14
	v_sub_f16_e32 v95, v23, v14
	v_add_f16_e32 v23, v78, v81
	v_add_f16_e32 v84, v15, v66
	v_sub_f16_e32 v66, v15, v66
	v_sub_f16_e32 v15, v72, v76
	v_add_f16_e32 v44, v12, v35
	v_fma_f16 v39, v42, 0.5, v39
	v_sub_f16_e32 v90, v12, v35
	v_fma_f16 v23, v23, -0.5, v79
	v_sub_f16_e32 v35, v45, v50
	v_fma_f16 v22, v15, s17, v13
	v_fma_f16 v13, v15, s16, v13
	v_add_f16_e32 v15, v71, v72
	v_add_f16_e32 v42, v37, v39
	v_sub_f16_e32 v94, v37, v39
	v_fma_f16 v36, v35, s17, v23
	v_fma_f16 v39, v35, s16, v23
	v_add_f16_e32 v35, v45, v50
	v_add_f16_e32 v15, v15, v76
	;; [unrolled: 1-line block ×4, first 2 shown]
	v_sub_f16_e32 v92, v13, v67
	v_add_f16_e32 v13, v19, v80
	v_add_f16_e32 v23, v49, v45
	v_fma_f16 v35, v35, -0.5, v49
	v_sub_f16_e32 v37, v78, v81
	v_mov_b32_e32 v45, 0x132
	v_add_f16_e32 v77, v15, v38
	v_sub_f16_e32 v93, v15, v38
	v_fma_f16 v14, v13, -0.5, v18
	v_sub_f16_e32 v15, v48, v46
	v_fma_f16 v38, v37, s16, v35
	v_cndmask_b32_e32 v45, 0, v45, vcc
	v_add_f16_e32 v75, v22, v40
	v_sub_f16_e32 v91, v22, v40
	v_add_f16_e32 v12, v18, v19
	v_fma_f16 v13, v15, s17, v14
	v_fma_f16 v14, v15, s16, v14
	v_add_f16_e32 v15, v47, v48
	v_add_f16_e32 v18, v48, v46
	v_fma_f16 v40, v37, s17, v35
	v_mul_f16_e32 v35, 0x3aee, v38
	v_add_lshl_u32 v181, v53, v45, 2
	v_pack_b32_f16 v41, v87, v41
	v_pack_b32_f16 v43, v88, v43
	v_add_f16_e32 v15, v15, v46
	v_fma_f16 v18, v18, -0.5, v47
	v_sub_f16_e32 v22, v19, v80
	v_fma_f16 v35, v36, 0.5, v35
	v_mul_f16_e32 v36, 0xbaee, v36
	v_pack_b32_f16 v45, v52, v84
	v_pack_b32_f16 v46, v82, v85
	ds_write2_b32 v181, v41, v43 offset0:204 offset1:255
	v_mul_u32_u24_e32 v41, 0x132, v69
	v_fma_f16 v19, v22, s16, v18
	v_fma_f16 v22, v22, s17, v18
	v_add_f16_e32 v18, v79, v78
	v_mul_f16_e32 v37, -0.5, v39
	v_fma_f16 v38, v38, 0.5, v36
	v_mul_f16_e32 v36, -0.5, v40
	ds_write2_b32 v181, v45, v46 offset1:51
	v_pack_b32_f16 v45, v83, v86
	v_pack_b32_f16 v46, v51, v66
	v_add_lshl_u32 v69, v41, v74, 2
	v_pack_b32_f16 v41, v44, v77
	v_pack_b32_f16 v42, v75, v42
	v_add_f16_e32 v12, v12, v80
	v_add_f16_e32 v18, v18, v81
	;; [unrolled: 1-line block ×3, first 2 shown]
	v_fma_f16 v37, v40, s17, v37
	v_fma_f16 v39, v39, s16, v36
	ds_write2_b32 v181, v45, v46 offset0:102 offset1:153
	ds_write2_b32 v69, v41, v42 offset1:51
	v_pack_b32_f16 v41, v76, v89
	v_pack_b32_f16 v42, v90, v93
	v_sub_f16_e32 v40, v12, v18
	v_sub_f16_e32 v72, v13, v35
	;; [unrolled: 1-line block ×6, first 2 shown]
	ds_write2_b32 v69, v41, v42 offset0:102 offset1:153
	v_pack_b32_f16 v41, v91, v94
	v_pack_b32_f16 v42, v92, v95
	v_lshlrev_b32_e32 v68, 2, v73
	ds_write2_b32 v69, v41, v42 offset0:204 offset1:255
	s_and_saveexec_b64 s[4:5], s[2:3]
	s_cbranch_execz .LBB0_11
; %bb.10:
	v_add_f16_e32 v19, v19, v38
	v_add_f16_e32 v15, v15, v23
	;; [unrolled: 1-line block ×6, first 2 shown]
	v_pack_b32_f16 v12, v12, v15
	v_pack_b32_f16 v13, v13, v19
	v_add_u32_e32 v15, 0x1000, v68
	s_mov_b32 s16, 0x5040100
	ds_write2_b32 v15, v12, v13 offset0:200 offset1:251
	v_pack_b32_f16 v12, v14, v22
	v_perm_b32 v13, v70, v40, s16
	v_add_u32_e32 v14, 0x1400, v68
	ds_write2_b32 v14, v12, v13 offset0:46 offset1:97
	v_perm_b32 v12, v71, v72, s16
	v_perm_b32 v13, v170, v36, s16
	ds_write2_b32 v14, v12, v13 offset0:148 offset1:199
.LBB0_11:
	s_or_b64 exec, exec, s[4:5]
	v_lshlrev_b64 v[16:17], 4, v[16:17]
	v_mov_b32_e32 v22, s15
	v_add_co_u32_e32 v16, vcc, s14, v16
	v_lshlrev_b64 v[20:21], 4, v[20:21]
	v_lshlrev_b32_e32 v12, 4, v55
	v_addc_co_u32_e32 v17, vcc, v22, v17, vcc
	s_waitcnt lgkmcnt(0)
	s_barrier
	global_load_dwordx4 v[12:15], v12, s[14:15] offset:1156
	v_add_co_u32_e32 v20, vcc, s14, v20
	global_load_dwordx4 v[16:19], v[16:17], off offset:1156
	v_addc_co_u32_e32 v21, vcc, v22, v21, vcc
	global_load_dwordx4 v[20:23], v[20:21], off offset:1156
	ds_read2_b32 v[45:46], v57 offset1:102
	v_add_u32_e32 v35, 0x200, v57
	v_add_u32_e32 v81, 0x800, v57
	;; [unrolled: 1-line block ×6, first 2 shown]
	ds_read_b32 v39, v57 offset:5712
	ds_read2_b32 v[49:50], v35 offset0:76 offset1:178
	ds_read2_b32 v[37:38], v81 offset0:100 offset1:202
	;; [unrolled: 1-line block ×6, first 2 shown]
	s_waitcnt lgkmcnt(5)
	v_lshrrev_b32_e32 v74, 16, v50
	s_waitcnt lgkmcnt(4)
	v_lshrrev_b32_e32 v75, 16, v37
	s_waitcnt lgkmcnt(3)
	v_lshrrev_b32_e32 v76, 16, v42
	s_waitcnt lgkmcnt(1)
	v_lshrrev_b32_e32 v78, 16, v47
	s_waitcnt lgkmcnt(0)
	v_lshrrev_b32_e32 v80, 16, v51
	v_lshrrev_b32_e32 v85, 16, v48
	v_lshrrev_b32_e32 v77, 16, v43
	;; [unrolled: 1-line block ×7, first 2 shown]
	s_movk_i32 s4, 0x3b9c
	s_mov_b32 s15, 0xbb9c
	s_movk_i32 s5, 0x38b4
	s_mov_b32 s16, 0xb8b4
	s_movk_i32 s14, 0x34f2
	v_lshrrev_b32_e32 v53, 16, v45
	v_lshrrev_b32_e32 v82, 16, v46
	;; [unrolled: 1-line block ×3, first 2 shown]
	s_waitcnt vmcnt(2)
	v_mul_f16_sdwa v89, v74, v12 dst_sel:DWORD dst_unused:UNUSED_PAD src0_sel:DWORD src1_sel:WORD_1
	v_mul_f16_sdwa v93, v50, v12 dst_sel:DWORD dst_unused:UNUSED_PAD src0_sel:DWORD src1_sel:WORD_1
	;; [unrolled: 1-line block ×6, first 2 shown]
	v_fma_f16 v50, v50, v12, -v89
	v_fma_f16 v89, v74, v12, v93
	v_fma_f16 v74, v37, v13, -v94
	s_waitcnt vmcnt(1)
	v_mul_f16_sdwa v37, v78, v16 dst_sel:DWORD dst_unused:UNUSED_PAD src0_sel:DWORD src1_sel:WORD_1
	v_fma_f16 v42, v42, v14, -v96
	v_fma_f16 v76, v76, v14, v97
	v_mul_f16_sdwa v96, v80, v18 dst_sel:DWORD dst_unused:UNUSED_PAD src0_sel:DWORD src1_sel:WORD_1
	v_mul_f16_sdwa v97, v51, v18 dst_sel:DWORD dst_unused:UNUSED_PAD src0_sel:DWORD src1_sel:WORD_1
	s_waitcnt vmcnt(0)
	v_mul_f16_sdwa v100, v85, v20 dst_sel:DWORD dst_unused:UNUSED_PAD src0_sel:DWORD src1_sel:WORD_1
	v_fma_f16 v103, v47, v16, -v37
	v_mul_f16_sdwa v37, v41, v21 dst_sel:DWORD dst_unused:UNUSED_PAD src0_sel:DWORD src1_sel:WORD_1
	v_mul_f16_sdwa v98, v77, v15 dst_sel:DWORD dst_unused:UNUSED_PAD src0_sel:DWORD src1_sel:WORD_1
	v_fma_f16 v51, v51, v18, -v96
	v_fma_f16 v96, v80, v18, v97
	v_fma_f16 v97, v48, v20, -v100
	v_fma_f16 v100, v86, v21, v37
	v_mul_f16_sdwa v37, v87, v22 dst_sel:DWORD dst_unused:UNUSED_PAD src0_sel:DWORD src1_sel:WORD_1
	v_mul_f16_sdwa v99, v43, v15 dst_sel:DWORD dst_unused:UNUSED_PAD src0_sel:DWORD src1_sel:WORD_1
	v_fma_f16 v93, v75, v13, v95
	v_fma_f16 v75, v43, v15, -v98
	v_mul_f16_sdwa v94, v79, v17 dst_sel:DWORD dst_unused:UNUSED_PAD src0_sel:DWORD src1_sel:WORD_1
	v_mul_f16_sdwa v95, v38, v17 dst_sel:DWORD dst_unused:UNUSED_PAD src0_sel:DWORD src1_sel:WORD_1
	;; [unrolled: 1-line block ×5, first 2 shown]
	v_fma_f16 v86, v52, v22, -v37
	v_mul_f16_sdwa v37, v52, v22 dst_sel:DWORD dst_unused:UNUSED_PAD src0_sel:DWORD src1_sel:WORD_1
	v_fma_f16 v77, v77, v15, v99
	v_fma_f16 v94, v38, v17, -v94
	v_fma_f16 v95, v79, v17, v95
	v_fma_f16 v79, v44, v19, -v98
	v_fma_f16 v98, v85, v20, v101
	v_fma_f16 v101, v87, v22, v37
	v_mul_f16_sdwa v37, v73, v23 dst_sel:DWORD dst_unused:UNUSED_PAD src0_sel:DWORD src1_sel:WORD_1
	v_add_f16_e32 v38, v74, v42
	v_mul_f16_sdwa v43, v47, v16 dst_sel:DWORD dst_unused:UNUSED_PAD src0_sel:DWORD src1_sel:WORD_1
	v_mul_f16_sdwa v99, v44, v19 dst_sel:DWORD dst_unused:UNUSED_PAD src0_sel:DWORD src1_sel:WORD_1
	v_fma_f16 v87, v39, v23, -v37
	v_mul_f16_sdwa v37, v39, v23 dst_sel:DWORD dst_unused:UNUSED_PAD src0_sel:DWORD src1_sel:WORD_1
	v_fma_f16 v39, v38, -0.5, v45
	v_sub_f16_e32 v44, v89, v77
	v_fma_f16 v104, v78, v16, v43
	v_fma_f16 v83, v83, v19, v99
	v_fma_f16 v99, v41, v21, -v102
	v_fma_f16 v38, v44, s4, v39
	v_sub_f16_e32 v47, v93, v76
	v_sub_f16_e32 v41, v50, v74
	;; [unrolled: 1-line block ×3, first 2 shown]
	v_fma_f16 v39, v44, s15, v39
	v_fma_f16 v38, v47, s5, v38
	v_add_f16_e32 v41, v41, v43
	v_fma_f16 v39, v47, s16, v39
	v_fma_f16 v38, v41, s14, v38
	;; [unrolled: 1-line block ×3, first 2 shown]
	v_add_f16_e32 v39, v50, v75
	v_fma_f16 v39, v39, -0.5, v45
	v_fma_f16 v102, v73, v23, v37
	v_add_f16_e32 v37, v45, v50
	v_fma_f16 v43, v47, s15, v39
	v_sub_f16_e32 v45, v74, v50
	v_sub_f16_e32 v48, v42, v75
	v_fma_f16 v39, v47, s4, v39
	v_add_f16_e32 v45, v45, v48
	v_fma_f16 v39, v44, s16, v39
	v_fma_f16 v43, v44, s5, v43
	;; [unrolled: 1-line block ×3, first 2 shown]
	v_add_f16_e32 v39, v53, v89
	v_add_f16_e32 v39, v39, v93
	;; [unrolled: 1-line block ×6, first 2 shown]
	v_fma_f16 v43, v45, s14, v43
	v_fma_f16 v39, v39, -0.5, v53
	v_sub_f16_e32 v45, v50, v75
	v_add_f16_e32 v37, v37, v42
	v_fma_f16 v47, v45, s15, v39
	v_sub_f16_e32 v42, v74, v42
	v_sub_f16_e32 v48, v89, v93
	;; [unrolled: 1-line block ×3, first 2 shown]
	v_fma_f16 v39, v45, s4, v39
	v_add_f16_e32 v48, v48, v50
	v_fma_f16 v39, v42, s5, v39
	v_add_f16_e32 v37, v37, v75
	;; [unrolled: 2-line block ×3, first 2 shown]
	v_fma_f16 v47, v42, s16, v47
	v_fma_f16 v39, v39, -0.5, v53
	v_fma_f16 v74, v48, s14, v47
	v_fma_f16 v47, v42, s4, v39
	v_sub_f16_e32 v48, v93, v89
	v_sub_f16_e32 v50, v76, v77
	v_fma_f16 v39, v42, s15, v39
	v_add_f16_e32 v48, v48, v50
	v_fma_f16 v39, v45, s5, v39
	v_fma_f16 v77, v48, s14, v39
	v_add_f16_e32 v39, v46, v103
	v_add_f16_e32 v39, v39, v94
	;; [unrolled: 1-line block ×3, first 2 shown]
	v_fma_f16 v47, v45, s16, v47
	v_add_f16_e32 v42, v39, v79
	v_add_f16_e32 v39, v94, v51
	v_fma_f16 v76, v48, s14, v47
	v_fma_f16 v39, v39, -0.5, v46
	v_sub_f16_e32 v47, v104, v83
	v_fma_f16 v45, v47, s4, v39
	v_sub_f16_e32 v50, v95, v96
	v_sub_f16_e32 v48, v103, v94
	;; [unrolled: 1-line block ×3, first 2 shown]
	v_fma_f16 v39, v47, s15, v39
	v_fma_f16 v45, v50, s5, v45
	v_add_f16_e32 v48, v48, v52
	v_fma_f16 v39, v50, s16, v39
	v_fma_f16 v45, v48, s14, v45
	;; [unrolled: 1-line block ×3, first 2 shown]
	v_add_f16_e32 v39, v103, v79
	v_fma_f16 v39, v39, -0.5, v46
	v_fma_f16 v46, v50, s15, v39
	v_sub_f16_e32 v52, v94, v103
	v_sub_f16_e32 v53, v51, v79
	v_fma_f16 v39, v50, s4, v39
	v_add_f16_e32 v52, v52, v53
	v_fma_f16 v39, v47, s16, v39
	v_fma_f16 v46, v47, s5, v46
	;; [unrolled: 1-line block ×3, first 2 shown]
	v_add_f16_e32 v39, v82, v104
	v_add_f16_e32 v39, v39, v95
	;; [unrolled: 1-line block ×5, first 2 shown]
	v_fma_f16 v39, v39, -0.5, v82
	v_sub_f16_e32 v50, v103, v79
	v_fma_f16 v46, v52, s14, v46
	v_fma_f16 v52, v50, s15, v39
	v_sub_f16_e32 v51, v94, v51
	v_sub_f16_e32 v53, v104, v95
	;; [unrolled: 1-line block ×3, first 2 shown]
	v_fma_f16 v39, v50, s4, v39
	v_add_f16_e32 v53, v53, v79
	v_fma_f16 v39, v51, s5, v39
	v_fma_f16 v80, v53, s14, v39
	v_add_f16_e32 v39, v104, v83
	v_fma_f16 v52, v51, s16, v52
	v_fma_f16 v39, v39, -0.5, v82
	v_fma_f16 v79, v53, s14, v52
	v_fma_f16 v52, v51, s4, v39
	v_sub_f16_e32 v53, v95, v104
	v_sub_f16_e32 v82, v96, v83
	v_fma_f16 v39, v51, s15, v39
	v_add_f16_e32 v53, v53, v82
	v_fma_f16 v39, v50, s5, v39
	v_fma_f16 v83, v53, s14, v39
	v_add_f16_e32 v39, v49, v97
	v_add_f16_e32 v39, v39, v99
	;; [unrolled: 1-line block ×3, first 2 shown]
	v_fma_f16 v52, v50, s16, v52
	v_add_f16_e32 v50, v39, v87
	v_add_f16_e32 v39, v99, v86
	v_fma_f16 v82, v53, s14, v52
	v_fma_f16 v39, v39, -0.5, v49
	v_sub_f16_e32 v53, v98, v102
	v_fma_f16 v51, v53, s4, v39
	v_sub_f16_e32 v85, v100, v101
	v_sub_f16_e32 v52, v97, v99
	;; [unrolled: 1-line block ×3, first 2 shown]
	v_fma_f16 v39, v53, s15, v39
	v_fma_f16 v51, v85, s5, v51
	v_add_f16_e32 v52, v52, v89
	v_fma_f16 v39, v85, s16, v39
	v_fma_f16 v51, v52, s14, v51
	v_fma_f16 v39, v52, s14, v39
	v_add_f16_e32 v52, v97, v87
	v_fma_f16 v49, v52, -0.5, v49
	v_fma_f16 v52, v85, s15, v49
	v_sub_f16_e32 v89, v99, v97
	v_sub_f16_e32 v93, v86, v87
	v_fma_f16 v49, v85, s4, v49
	v_add_f16_e32 v89, v89, v93
	v_fma_f16 v49, v53, s16, v49
	v_fma_f16 v52, v53, s5, v52
	;; [unrolled: 1-line block ×3, first 2 shown]
	v_add_f16_e32 v49, v88, v98
	v_add_f16_e32 v49, v49, v100
	v_add_f16_e32 v49, v49, v101
	v_add_f16_e32 v85, v49, v102
	v_add_f16_e32 v49, v100, v101
	v_fma_f16 v52, v89, s14, v52
	v_fma_f16 v49, v49, -0.5, v88
	v_sub_f16_e32 v89, v97, v87
	v_fma_f16 v87, v89, s15, v49
	v_sub_f16_e32 v93, v99, v86
	v_fma_f16 v86, v93, s16, v87
	v_sub_f16_e32 v87, v98, v100
	v_sub_f16_e32 v94, v102, v101
	v_fma_f16 v49, v89, s4, v49
	v_add_f16_e32 v87, v87, v94
	v_fma_f16 v49, v93, s5, v49
	v_fma_f16 v86, v87, s14, v86
	;; [unrolled: 1-line block ×3, first 2 shown]
	v_add_f16_e32 v49, v98, v102
	v_fma_f16 v49, v49, -0.5, v88
	v_fma_f16 v88, v93, s4, v49
	v_sub_f16_e32 v94, v100, v98
	v_sub_f16_e32 v95, v101, v102
	v_fma_f16 v49, v93, s15, v49
	v_add_f16_e32 v94, v94, v95
	v_fma_f16 v49, v89, s5, v49
	v_fma_f16 v88, v89, s16, v88
	v_fma_f16 v89, v94, s14, v49
	v_pack_b32_f16 v49, v37, v73
	v_pack_b32_f16 v97, v42, v78
	v_fma_f16 v88, v94, s14, v88
	v_pack_b32_f16 v94, v43, v76
	ds_write2_b32 v57, v49, v97 offset1:102
	v_pack_b32_f16 v97, v46, v82
	v_pack_b32_f16 v96, v41, v75
	ds_write2_b32 v81, v94, v97 offset0:100 offset1:202
	v_pack_b32_f16 v94, v48, v80
	v_pack_b32_f16 v93, v38, v74
	ds_write2_b32 v90, v96, v94 offset0:72 offset1:174
	;; [unrolled: 3-line block ×5, first 2 shown]
	v_pack_b32_f16 v35, v53, v89
	ds_write2_b32 v92, v81, v35 offset0:124 offset1:226
	v_pack_b32_f16 v35, v39, v87
	ds_write_b32 v57, v35 offset:5712
	s_waitcnt lgkmcnt(0)
	s_barrier
	s_and_saveexec_b64 s[4:5], s[0:1]
	s_cbranch_execz .LBB0_13
; %bb.12:
	v_mov_b32_e32 v35, s7
	v_add_co_u32_e32 v49, vcc, s6, v54
	v_addc_co_u32_e32 v35, vcc, 0, v35, vcc
	v_add_co_u32_e32 v90, vcc, 0x17e8, v49
	v_addc_co_u32_e32 v91, vcc, 0, v35, vcc
	;; [unrolled: 2-line block ×3, first 2 shown]
	global_load_dword v81, v[92:93], off offset:2024
	global_load_dword v84, v[90:91], off offset:360
	;; [unrolled: 1-line block ×11, first 2 shown]
	s_movk_i32 s14, 0x2000
	v_add_co_u32_e32 v92, vcc, s14, v49
	v_addc_co_u32_e32 v93, vcc, 0, v35, vcc
	ds_read_b32 v94, v57
	global_load_dword v35, v[92:93], off offset:2248
	global_load_dword v49, v[92:93], off offset:2608
	;; [unrolled: 1-line block ×5, first 2 shown]
	v_add_u32_e32 v105, 0x400, v54
	v_add_u32_e32 v106, 0x600, v54
	;; [unrolled: 1-line block ×3, first 2 shown]
	s_waitcnt lgkmcnt(0)
	v_lshrrev_b32_e32 v90, 16, v94
	s_waitcnt vmcnt(15)
	v_mul_f16_sdwa v91, v90, v81 dst_sel:DWORD dst_unused:UNUSED_PAD src0_sel:DWORD src1_sel:WORD_1
	v_mul_f16_sdwa v95, v94, v81 dst_sel:DWORD dst_unused:UNUSED_PAD src0_sel:DWORD src1_sel:WORD_1
	v_fma_f16 v91, v94, v81, -v91
	v_fma_f16 v81, v90, v81, v95
	v_pack_b32_f16 v81, v91, v81
	ds_write_b32 v57, v81
	global_load_dword v81, v[92:93], off offset:3688
	ds_read2_b32 v[90:91], v54 offset0:90 offset1:180
	ds_read2_b32 v[92:93], v105 offset0:14 offset1:104
	;; [unrolled: 1-line block ×4, first 2 shown]
	s_waitcnt lgkmcnt(2)
	v_lshrrev_b32_e32 v117, 16, v92
	v_lshrrev_b32_e32 v113, 16, v90
	s_waitcnt vmcnt(15)
	v_mul_f16_sdwa v114, v90, v84 dst_sel:DWORD dst_unused:UNUSED_PAD src0_sel:DWORD src1_sel:WORD_1
	v_lshrrev_b32_e32 v115, 16, v91
	s_waitcnt vmcnt(14)
	v_mul_f16_sdwa v116, v91, v98 dst_sel:DWORD dst_unused:UNUSED_PAD src0_sel:DWORD src1_sel:WORD_1
	s_waitcnt vmcnt(13)
	v_mul_f16_sdwa v118, v92, v99 dst_sel:DWORD dst_unused:UNUSED_PAD src0_sel:DWORD src1_sel:WORD_1
	v_lshrrev_b32_e32 v119, 16, v93
	s_waitcnt vmcnt(12)
	v_mul_f16_sdwa v120, v93, v100 dst_sel:DWORD dst_unused:UNUSED_PAD src0_sel:DWORD src1_sel:WORD_1
	s_waitcnt lgkmcnt(1)
	v_lshrrev_b32_e32 v121, 16, v94
	s_waitcnt vmcnt(11)
	v_mul_f16_sdwa v122, v94, v101 dst_sel:DWORD dst_unused:UNUSED_PAD src0_sel:DWORD src1_sel:WORD_1
	v_lshrrev_b32_e32 v123, 16, v95
	s_waitcnt vmcnt(10)
	v_mul_f16_sdwa v124, v95, v102 dst_sel:DWORD dst_unused:UNUSED_PAD src0_sel:DWORD src1_sel:WORD_1
	v_mul_f16_sdwa v128, v113, v84 dst_sel:DWORD dst_unused:UNUSED_PAD src0_sel:DWORD src1_sel:WORD_1
	v_fma_f16 v113, v113, v84, v114
	v_mul_f16_sdwa v114, v115, v98 dst_sel:DWORD dst_unused:UNUSED_PAD src0_sel:DWORD src1_sel:WORD_1
	v_fma_f16 v115, v115, v98, v116
	;; [unrolled: 2-line block ×6, first 2 shown]
	v_fma_f16 v84, v90, v84, -v128
	v_fma_f16 v90, v91, v98, -v114
	;; [unrolled: 1-line block ×6, first 2 shown]
	v_pack_b32_f16 v84, v84, v113
	v_pack_b32_f16 v90, v90, v115
	;; [unrolled: 1-line block ×6, first 2 shown]
	ds_write2_b32 v54, v84, v90 offset0:90 offset1:180
	ds_write2_b32 v105, v91, v92 offset0:14 offset1:104
	;; [unrolled: 1-line block ×3, first 2 shown]
	v_add_u32_e32 v94, 0xc00, v54
	ds_read2_b32 v[90:91], v94 offset0:42 offset1:132
	s_waitcnt lgkmcnt(4)
	v_lshrrev_b32_e32 v125, 16, v96
	v_lshrrev_b32_e32 v127, 16, v97
	s_waitcnt vmcnt(9)
	v_mul_f16_sdwa v126, v96, v103 dst_sel:DWORD dst_unused:UNUSED_PAD src0_sel:DWORD src1_sel:WORD_1
	v_mul_f16_sdwa v124, v125, v103 dst_sel:DWORD dst_unused:UNUSED_PAD src0_sel:DWORD src1_sel:WORD_1
	s_waitcnt vmcnt(8)
	v_mul_f16_sdwa v84, v127, v104 dst_sel:DWORD dst_unused:UNUSED_PAD src0_sel:DWORD src1_sel:WORD_1
	v_mul_f16_sdwa v92, v97, v104 dst_sel:DWORD dst_unused:UNUSED_PAD src0_sel:DWORD src1_sel:WORD_1
	v_fma_f16 v125, v125, v103, v126
	v_fma_f16 v95, v96, v103, -v124
	v_fma_f16 v84, v97, v104, -v84
	v_fma_f16 v92, v127, v104, v92
	v_pack_b32_f16 v95, v95, v125
	v_pack_b32_f16 v84, v84, v92
	ds_write2_b32 v108, v95, v84 offset0:118 offset1:208
	s_waitcnt lgkmcnt(1)
	v_lshrrev_b32_e32 v84, 16, v90
	s_waitcnt vmcnt(7)
	v_mul_f16_sdwa v92, v84, v107 dst_sel:DWORD dst_unused:UNUSED_PAD src0_sel:DWORD src1_sel:WORD_1
	v_fma_f16 v92, v90, v107, -v92
	v_mul_f16_sdwa v90, v90, v107 dst_sel:DWORD dst_unused:UNUSED_PAD src0_sel:DWORD src1_sel:WORD_1
	v_fma_f16 v84, v84, v107, v90
	v_lshrrev_b32_e32 v90, 16, v91
	v_pack_b32_f16 v84, v92, v84
	s_waitcnt vmcnt(6)
	v_mul_f16_sdwa v92, v90, v109 dst_sel:DWORD dst_unused:UNUSED_PAD src0_sel:DWORD src1_sel:WORD_1
	v_add_u32_e32 v96, 0xe00, v54
	v_fma_f16 v95, v91, v109, -v92
	ds_read2_b32 v[92:93], v96 offset0:94 offset1:184
	v_mul_f16_sdwa v91, v91, v109 dst_sel:DWORD dst_unused:UNUSED_PAD src0_sel:DWORD src1_sel:WORD_1
	v_fma_f16 v90, v90, v109, v91
	v_pack_b32_f16 v90, v95, v90
	ds_write2_b32 v94, v84, v90 offset0:42 offset1:132
	s_waitcnt lgkmcnt(1)
	v_lshrrev_b32_e32 v84, 16, v92
	s_waitcnt vmcnt(1)
	v_mul_f16_sdwa v90, v84, v112 dst_sel:DWORD dst_unused:UNUSED_PAD src0_sel:DWORD src1_sel:WORD_1
	v_mul_f16_sdwa v91, v92, v112 dst_sel:DWORD dst_unused:UNUSED_PAD src0_sel:DWORD src1_sel:WORD_1
	v_fma_f16 v90, v92, v112, -v90
	v_fma_f16 v84, v84, v112, v91
	v_lshrrev_b32_e32 v92, 16, v93
	v_pack_b32_f16 v84, v90, v84
	v_mul_f16_sdwa v90, v92, v35 dst_sel:DWORD dst_unused:UNUSED_PAD src0_sel:DWORD src1_sel:WORD_1
	v_add_u32_e32 v95, 0x1000, v54
	v_fma_f16 v94, v93, v35, -v90
	ds_read2_b32 v[90:91], v95 offset0:146 offset1:236
	v_mul_f16_sdwa v93, v93, v35 dst_sel:DWORD dst_unused:UNUSED_PAD src0_sel:DWORD src1_sel:WORD_1
	v_fma_f16 v35, v92, v35, v93
	v_pack_b32_f16 v35, v94, v35
	ds_write2_b32 v96, v84, v35 offset0:94 offset1:184
	s_waitcnt lgkmcnt(1)
	v_lshrrev_b32_e32 v35, 16, v90
	v_mul_f16_sdwa v84, v35, v49 dst_sel:DWORD dst_unused:UNUSED_PAD src0_sel:DWORD src1_sel:WORD_1
	v_fma_f16 v84, v90, v49, -v84
	v_mul_f16_sdwa v90, v90, v49 dst_sel:DWORD dst_unused:UNUSED_PAD src0_sel:DWORD src1_sel:WORD_1
	v_fma_f16 v35, v35, v49, v90
	v_add_u32_e32 v90, 0x1400, v54
	v_lshrrev_b32_e32 v49, 16, v91
	ds_read2_b32 v[92:93], v90 offset0:70 offset1:160
	v_pack_b32_f16 v35, v84, v35
	v_mul_f16_sdwa v84, v49, v110 dst_sel:DWORD dst_unused:UNUSED_PAD src0_sel:DWORD src1_sel:WORD_1
	v_fma_f16 v84, v91, v110, -v84
	v_mul_f16_sdwa v91, v91, v110 dst_sel:DWORD dst_unused:UNUSED_PAD src0_sel:DWORD src1_sel:WORD_1
	v_fma_f16 v49, v49, v110, v91
	v_pack_b32_f16 v49, v84, v49
	ds_write2_b32 v95, v35, v49 offset0:146 offset1:236
	s_waitcnt lgkmcnt(1)
	v_lshrrev_b32_e32 v35, 16, v92
	v_mul_f16_sdwa v49, v35, v111 dst_sel:DWORD dst_unused:UNUSED_PAD src0_sel:DWORD src1_sel:WORD_1
	v_mul_f16_sdwa v84, v92, v111 dst_sel:DWORD dst_unused:UNUSED_PAD src0_sel:DWORD src1_sel:WORD_1
	v_fma_f16 v49, v92, v111, -v49
	v_fma_f16 v35, v35, v111, v84
	v_pack_b32_f16 v35, v49, v35
	v_lshrrev_b32_e32 v49, 16, v93
	s_waitcnt vmcnt(0)
	v_mul_f16_sdwa v84, v49, v81 dst_sel:DWORD dst_unused:UNUSED_PAD src0_sel:DWORD src1_sel:WORD_1
	v_mul_f16_sdwa v91, v93, v81 dst_sel:DWORD dst_unused:UNUSED_PAD src0_sel:DWORD src1_sel:WORD_1
	v_fma_f16 v84, v93, v81, -v84
	v_fma_f16 v49, v49, v81, v91
	v_pack_b32_f16 v49, v84, v49
	ds_write2_b32 v90, v35, v49 offset0:70 offset1:160
.LBB0_13:
	s_or_b64 exec, exec, s[4:5]
	s_waitcnt lgkmcnt(0)
	s_barrier
	s_and_saveexec_b64 s[4:5], s[0:1]
	s_cbranch_execz .LBB0_15
; %bb.14:
	v_add_u32_e32 v35, 0x200, v57
	ds_read2_b32 v[43:44], v35 offset0:52 offset1:142
	v_add_u32_e32 v35, 0x400, v57
	ds_read2_b32 v[41:42], v35 offset0:104 offset1:194
	;; [unrolled: 2-line block ×6, first 2 shown]
	v_add_u32_e32 v35, 0x1200, v57
	ds_read2_b32 v[37:38], v57 offset1:90
	ds_read2_b32 v[39:40], v35 offset0:108 offset1:198
	ds_read_b32 v72, v57 offset:5760
	s_waitcnt lgkmcnt(8)
	v_lshrrev_b32_e32 v76, 16, v43
	v_lshrrev_b32_e32 v77, 16, v44
	s_waitcnt lgkmcnt(2)
	v_lshrrev_b32_e32 v73, 16, v37
	v_lshrrev_b32_e32 v74, 16, v38
	;; [unrolled: 1-line block ×12, first 2 shown]
	s_waitcnt lgkmcnt(1)
	v_lshrrev_b32_e32 v87, 16, v39
	v_lshrrev_b32_e32 v70, 16, v40
	s_waitcnt lgkmcnt(0)
	v_lshrrev_b32_e32 v71, 16, v72
.LBB0_15:
	s_or_b64 exec, exec, s[4:5]
	v_sub_f16_e32 v121, v74, v71
	v_add_f16_e32 v90, v72, v38
	v_add_f16_e32 v128, v71, v74
	s_movk_i32 s14, 0x3b76
	v_mul_f16_e32 v108, 0xb5c8, v121
	v_sub_f16_e32 v126, v76, v70
	v_sub_f16_e32 v91, v38, v72
	s_mov_b32 s16, 0xb5c8
	v_mul_f16_e32 v111, 0x3b76, v128
	v_fma_f16 v35, v90, s14, -v108
	s_movk_i32 s15, 0x39e9
	v_add_f16_e32 v92, v40, v43
	v_add_f16_e32 v134, v70, v76
	v_mul_f16_e32 v110, 0xb964, v126
	v_add_f16_e32 v35, v37, v35
	v_fma_f16 v49, v91, s16, v111
	s_mov_b32 s26, 0xb964
	v_mul_f16_e32 v114, 0xb964, v121
	v_sub_f16_e32 v94, v43, v40
	v_mul_f16_e32 v112, 0x39e9, v134
	v_fma_f16 v93, v92, s15, -v110
	v_add_f16_e32 v49, v73, v49
	v_mul_f16_e32 v118, 0x39e9, v128
	v_fma_f16 v81, v90, s15, -v114
	v_add_f16_e32 v35, v93, v35
	v_fma_f16 v93, v94, s26, v112
	s_movk_i32 s17, 0x2de8
	v_mul_f16_e32 v117, 0xbbf7, v126
	v_add_f16_e32 v81, v37, v81
	v_fma_f16 v84, v91, s26, v118
	v_add_f16_e32 v49, v93, v49
	s_mov_b32 s18, 0xbbf7
	v_mul_f16_e32 v122, 0x2de8, v134
	v_fma_f16 v93, v92, s17, -v117
	v_add_f16_e32 v84, v73, v84
	v_add_f16_e32 v81, v93, v81
	v_fma_f16 v93, v94, s18, v122
	v_sub_f16_e32 v131, v77, v87
	v_add_f16_e32 v84, v93, v84
	v_add_f16_e32 v93, v39, v44
	;; [unrolled: 1-line block ×3, first 2 shown]
	s_movk_i32 s19, 0x3722
	v_mul_f16_e32 v113, 0xbb29, v131
	v_sub_f16_e32 v95, v44, v39
	s_mov_b32 s21, 0xbb29
	v_mul_f16_e32 v116, 0x3722, v139
	v_fma_f16 v96, v93, s19, -v113
	v_add_f16_e32 v35, v96, v35
	v_fma_f16 v96, v95, s21, v116
	s_mov_b32 s20, 0xb8d2
	v_mul_f16_e32 v123, 0xba62, v131
	v_add_f16_e32 v49, v96, v49
	s_mov_b32 s23, 0xba62
	v_mul_f16_e32 v129, 0xb8d2, v139
	v_fma_f16 v96, v93, s20, -v123
	v_add_f16_e32 v81, v96, v81
	v_fma_f16 v96, v95, s23, v129
	v_sub_f16_e32 v138, v75, v89
	v_add_f16_e32 v84, v96, v84
	v_add_f16_e32 v96, v53, v41
	;; [unrolled: 1-line block ×3, first 2 shown]
	v_mul_f16_e32 v115, 0xbbf7, v138
	v_sub_f16_e32 v98, v41, v53
	v_mul_f16_e32 v119, 0x2de8, v145
	v_fma_f16 v97, v96, s17, -v115
	v_add_f16_e32 v35, v97, v35
	v_fma_f16 v97, v98, s18, v119
	s_mov_b32 s22, 0xbbdd
	v_mul_f16_e32 v127, 0xb1e1, v138
	v_add_f16_e32 v49, v97, v49
	s_mov_b32 s27, 0xb1e1
	v_mul_f16_e32 v133, 0xbbdd, v145
	v_fma_f16 v97, v96, s22, -v127
	v_add_f16_e32 v81, v97, v81
	v_fma_f16 v97, v98, s27, v133
	v_sub_f16_e32 v143, v78, v88
	v_add_f16_e32 v84, v97, v84
	v_add_f16_e32 v97, v52, v42
	;; [unrolled: 1-line block ×3, first 2 shown]
	s_mov_b32 s24, 0xb461
	v_mul_f16_e32 v120, 0xbbb2, v143
	v_sub_f16_e32 v99, v42, v52
	s_mov_b32 s30, 0xbbb2
	v_mul_f16_e32 v125, 0xb461, v149
	v_fma_f16 v100, v97, s24, -v120
	v_add_f16_e32 v35, v100, v35
	v_fma_f16 v100, v99, s30, v125
	s_mov_b32 s25, 0xbacd
	v_mul_f16_e32 v135, 0x3836, v143
	v_add_f16_e32 v49, v100, v49
	v_mul_f16_e32 v141, 0xbacd, v149
	v_fma_f16 v100, v97, s25, -v135
	v_add_f16_e32 v81, v100, v81
	v_fma_f16 v100, v99, s31, v141
	v_sub_f16_e32 v147, v79, v86
	v_add_f16_e32 v84, v100, v84
	v_add_f16_e32 v100, v51, v45
	;; [unrolled: 1-line block ×3, first 2 shown]
	v_mul_f16_e32 v124, 0xba62, v147
	v_sub_f16_e32 v102, v45, v51
	v_mul_f16_e32 v132, 0xb8d2, v153
	v_fma_f16 v101, v100, s20, -v124
	v_add_f16_e32 v35, v101, v35
	v_fma_f16 v101, v102, s23, v132
	v_mul_f16_e32 v140, 0x3bb2, v147
	v_add_f16_e32 v49, v101, v49
	s_movk_i32 s28, 0x3bb2
	v_mul_f16_e32 v146, 0xb461, v153
	v_fma_f16 v101, v100, s24, -v140
	v_add_f16_e32 v81, v101, v81
	v_fma_f16 v101, v102, s28, v146
	v_sub_f16_e32 v151, v82, v85
	v_add_f16_e32 v84, v101, v84
	v_add_f16_e32 v101, v50, v46
	v_add_f16_e32 v155, v85, v82
	v_mul_f16_e32 v130, 0xb836, v151
	v_sub_f16_e32 v104, v46, v50
	s_mov_b32 s29, 0xb836
	v_mul_f16_e32 v137, 0xbacd, v155
	v_fma_f16 v103, v101, s25, -v130
	v_add_f16_e32 v35, v103, v35
	v_fma_f16 v103, v104, s29, v137
	v_mul_f16_e32 v144, 0x3b29, v151
	v_add_f16_e32 v49, v103, v49
	s_movk_i32 s35, 0x3b29
	v_mul_f16_e32 v150, 0x3722, v155
	v_fma_f16 v103, v101, s19, -v144
	v_add_f16_e32 v81, v103, v81
	v_fma_f16 v103, v104, s35, v150
	v_sub_f16_e32 v154, v83, v80
	v_add_f16_e32 v106, v103, v84
	v_add_f16_e32 v103, v48, v47
	;; [unrolled: 1-line block ×3, first 2 shown]
	v_mul_f16_e32 v136, 0xb1e1, v154
	v_sub_f16_e32 v105, v47, v48
	v_mul_f16_e32 v142, 0xbbdd, v156
	v_fma_f16 v84, v103, s22, -v136
	v_add_f16_e32 v35, v84, v35
	v_fma_f16 v84, v105, s27, v142
	v_mul_f16_e32 v148, 0x35c8, v154
	v_add_f16_e32 v84, v84, v49
	s_movk_i32 s33, 0x35c8
	v_mul_f16_e32 v152, 0x3b76, v156
	v_fma_f16 v49, v103, s14, -v148
	v_add_f16_e32 v49, v49, v81
	v_fma_f16 v81, v105, s33, v152
	v_add_f16_e32 v81, v81, v106
	s_barrier
	s_and_saveexec_b64 s[4:5], s[0:1]
	s_cbranch_execz .LBB0_17
; %bb.16:
	v_mul_f16_e32 v189, 0xbbdd, v128
	s_movk_i32 s34, 0x31e1
	v_fma_f16 v106, v91, s34, v189
	v_mul_f16_e32 v190, 0x3b76, v134
	v_add_f16_e32 v106, v73, v106
	v_fma_f16 v107, v94, s16, v190
	v_mul_f16_e32 v191, 0xbacd, v139
	v_add_f16_e32 v106, v107, v106
	;; [unrolled: 3-line block ×3, first 2 shown]
	v_fma_f16 v107, v98, s26, v192
	v_mul_f16_e32 v193, 0xb8d2, v149
	s_movk_i32 s37, 0x3a62
	v_add_f16_e32 v106, v107, v106
	v_fma_f16 v107, v99, s37, v193
	v_mul_f16_e32 v194, 0x3722, v153
	v_add_f16_e32 v106, v107, v106
	v_fma_f16 v107, v102, s21, v194
	v_mul_f16_e32 v195, 0xb461, v155
	;; [unrolled: 3-line block ×12, first 2 shown]
	buffer_store_dword v56, off, s[40:43], 0 offset:4 ; 4-byte Folded Spill
	v_add_f16_e32 v56, v109, v107
	v_fma_f16 v109, v91, s31, v205
	v_mul_f16_e32 v206, 0x3722, v134
	v_add_f16_e32 v109, v73, v109
	v_fma_f16 v207, v94, s21, v206
	s_movk_i32 s38, 0x3bf7
	v_add_f16_e32 v109, v207, v109
	v_mul_f16_e32 v207, 0x2de8, v139
	v_fma_f16 v208, v95, s38, v207
	v_add_f16_e32 v109, v208, v109
	v_mul_f16_e32 v208, 0xb8d2, v145
	v_fma_f16 v209, v98, s23, v208
	;; [unrolled: 3-line block ×6, first 2 shown]
	buffer_store_dword v56, off, s[40:43], 0 offset:8 ; 4-byte Folded Spill
	v_add_f16_e32 v56, v213, v109
	v_mul_f16_e32 v213, 0xb836, v121
	v_fma_f16 v214, v90, s25, v213
	v_mul_f16_e32 v215, 0x3b29, v126
	v_add_f16_e32 v214, v37, v214
	v_fma_f16 v216, v92, s19, v215
	v_add_f16_e32 v214, v216, v214
	v_mul_f16_e32 v216, 0xbbf7, v131
	v_fma_f16 v217, v93, s17, v216
	v_add_f16_e32 v214, v217, v214
	v_mul_f16_e32 v217, 0x3a62, v138
	;; [unrolled: 3-line block ×5, first 2 shown]
	v_add_f16_e32 v38, v38, v37
	v_fma_f16 v221, v101, s15, v220
	v_add_f16_e32 v38, v43, v38
	v_add_f16_e32 v214, v221, v214
	v_mul_f16_e32 v221, 0xbbb2, v154
	v_add_f16_e32 v38, v44, v38
	v_fma_f16 v222, v103, s24, v221
	v_add_f16_e32 v38, v41, v38
	buffer_store_dword v56, off, s[40:43], 0 offset:12 ; 4-byte Folded Spill
	v_add_f16_e32 v56, v222, v214
	v_mul_f16_e32 v222, 0xb8d2, v128
	v_add_f16_e32 v38, v42, v38
	v_fma_f16 v223, v91, s37, v222
	v_mul_f16_e32 v224, 0xb461, v134
	v_add_f16_e32 v38, v45, v38
	v_add_f16_e32 v223, v73, v223
	v_fma_f16 v225, v94, s30, v224
	v_add_f16_e32 v38, v46, v38
	v_add_f16_e32 v223, v225, v223
	v_mul_f16_e32 v225, 0x3b76, v139
	v_add_f16_e32 v38, v47, v38
	v_fma_f16 v226, v95, s33, v225
	v_add_f16_e32 v38, v48, v38
	v_add_f16_e32 v223, v226, v223
	v_mul_f16_e32 v226, 0xbacd, v145
	;; [unrolled: 5-line block ×3, first 2 shown]
	v_add_f16_e32 v38, v52, v38
	v_fma_f16 v228, v99, s18, v227
	v_add_f16_e32 v38, v53, v38
	s_movk_i32 s36, 0x3964
	v_add_f16_e32 v223, v228, v223
	v_mul_f16_e32 v228, 0x39e9, v153
	v_add_f16_e32 v38, v39, v38
	v_fma_f16 v229, v102, s36, v228
	v_add_f16_e32 v38, v40, v38
	v_fma_f16 v40, v91, s27, v189
	v_add_f16_e32 v223, v229, v223
	v_mul_f16_e32 v229, 0xbbdd, v155
	v_add_f16_e32 v40, v73, v40
	v_fma_f16 v41, v94, s33, v190
	v_fma_f16 v230, v104, s34, v229
	v_add_f16_e32 v40, v41, v40
	v_fma_f16 v41, v95, s29, v191
	v_add_f16_e32 v223, v230, v223
	v_mul_f16_e32 v230, 0x3722, v156
	v_add_f16_e32 v40, v41, v40
	v_fma_f16 v41, v98, s36, v192
	v_fma_f16 v231, v105, s21, v230
	v_add_f16_e32 v40, v41, v40
	v_fma_f16 v41, v99, s23, v193
	buffer_store_dword v56, off, s[40:43], 0 offset:16 ; 4-byte Folded Spill
	v_add_f16_e32 v56, v231, v223
	v_mul_f16_e32 v231, 0xba62, v121
	v_add_f16_e32 v40, v41, v40
	v_fma_f16 v41, v102, s35, v194
	v_fma_f16 v232, v90, s20, v231
	v_mul_f16_e32 v233, 0x3bb2, v126
	v_add_f16_e32 v40, v41, v40
	v_fma_f16 v41, v104, s30, v195
	v_add_f16_e32 v232, v37, v232
	v_fma_f16 v234, v92, s24, v233
	;; [unrolled: 2-line block ×3, first 2 shown]
	v_add_f16_e32 v232, v234, v232
	v_mul_f16_e32 v234, 0xb5c8, v131
	v_add_f16_e32 v40, v41, v40
	v_fma_f16 v41, v90, s22, -v197
	v_fma_f16 v235, v93, s14, v234
	v_add_f16_e32 v41, v37, v41
	v_fma_f16 v42, v92, s14, -v198
	v_add_f16_e32 v232, v235, v232
	v_mul_f16_e32 v235, 0xb836, v138
	v_add_f16_e32 v41, v42, v41
	v_fma_f16 v42, v93, s25, -v199
	v_fma_f16 v236, v96, s25, v235
	v_add_f16_e32 v41, v42, v41
	v_fma_f16 v42, v96, s15, -v200
	;; [unrolled: 7-line block ×4, first 2 shown]
	v_add_f16_e32 v232, v238, v232
	v_mul_f16_e32 v238, 0xb1e1, v151
	v_add_f16_e32 v41, v42, v41
	v_fma_f16 v42, v91, s29, v205
	v_fma_f16 v239, v101, s22, v238
	v_add_f16_e32 v42, v73, v42
	v_fma_f16 v43, v94, s35, v206
	v_add_f16_e32 v232, v239, v232
	v_mul_f16_e32 v239, 0x3b29, v154
	v_add_f16_e32 v42, v43, v42
	v_fma_f16 v43, v95, s18, v207
	v_fma_f16 v240, v103, s19, v239
	v_add_f16_e32 v42, v43, v42
	v_fma_f16 v43, v98, s37, v208
	buffer_store_dword v56, off, s[40:43], 0 offset:20 ; 4-byte Folded Spill
	v_add_f16_e32 v56, v240, v232
	v_mul_f16_e32 v240, 0xb461, v128
	v_add_f16_e32 v42, v43, v42
	v_fma_f16 v43, v99, s16, v209
	v_fma_f16 v241, v91, s28, v240
	v_mul_f16_e32 v242, 0xbacd, v134
	v_add_f16_e32 v42, v43, v42
	v_fma_f16 v43, v102, s27, v210
	v_add_f16_e32 v241, v73, v241
	v_fma_f16 v243, v94, s29, v242
	v_add_f16_e32 v42, v43, v42
	v_fma_f16 v43, v104, s36, v211
	v_add_f16_e32 v241, v243, v241
	v_mul_f16_e32 v243, 0x39e9, v139
	v_add_f16_e32 v42, v43, v42
	v_fma_f16 v43, v105, s30, v212
	v_fma_f16 v244, v95, s26, v243
	v_add_f16_e32 v42, v43, v42
	v_fma_f16 v43, v90, s25, -v213
	v_add_f16_e32 v241, v244, v241
	v_mul_f16_e32 v244, 0x3722, v145
	v_add_f16_e32 v43, v37, v43
	v_fma_f16 v44, v92, s19, -v215
	v_fma_f16 v245, v98, s35, v244
	v_add_f16_e32 v43, v44, v43
	v_fma_f16 v44, v93, s17, -v216
	v_add_f16_e32 v241, v245, v241
	v_mul_f16_e32 v245, 0xbbdd, v149
	v_add_f16_e32 v43, v44, v43
	v_fma_f16 v44, v96, s20, -v217
	;; [unrolled: 7-line block ×4, first 2 shown]
	v_fma_f16 v248, v104, s33, v247
	v_add_f16_e32 v43, v44, v43
	v_fma_f16 v44, v91, s23, v222
	v_add_f16_e32 v241, v248, v241
	v_mul_f16_e32 v248, 0xb8d2, v156
	v_add_f16_e32 v44, v73, v44
	v_fma_f16 v45, v94, s28, v224
	v_fma_f16 v249, v105, s37, v248
	v_add_f16_e32 v44, v45, v44
	v_fma_f16 v45, v95, s16, v225
	buffer_store_dword v56, off, s[40:43], 0 offset:24 ; 4-byte Folded Spill
	v_add_f16_e32 v56, v249, v241
	v_mul_f16_e32 v249, 0xbbb2, v121
	v_add_f16_e32 v44, v45, v44
	v_fma_f16 v45, v98, s29, v226
	v_fma_f16 v250, v90, s24, v249
	v_mul_f16_e32 v251, 0x3836, v126
	v_add_f16_e32 v44, v45, v44
	v_fma_f16 v45, v99, s38, v227
	v_add_f16_e32 v250, v37, v250
	v_fma_f16 v252, v92, s25, v251
	;; [unrolled: 2-line block ×3, first 2 shown]
	v_add_f16_e32 v250, v252, v250
	v_mul_f16_e32 v252, 0x3964, v131
	v_add_f16_e32 v44, v45, v44
	v_fma_f16 v45, v104, s27, v229
	v_fma_f16 v253, v93, s15, v252
	v_add_f16_e32 v44, v45, v44
	v_fma_f16 v45, v105, s35, v230
	v_add_f16_e32 v250, v253, v250
	v_mul_f16_e32 v253, 0xbb29, v138
	v_add_f16_e32 v44, v45, v44
	v_fma_f16 v45, v90, s20, -v231
	v_fma_f16 v254, v96, s19, v253
	v_add_f16_e32 v45, v37, v45
	v_fma_f16 v46, v92, s24, -v233
	v_add_f16_e32 v250, v254, v250
	v_mul_f16_e32 v254, 0xb1e1, v143
	v_add_f16_e32 v45, v46, v45
	v_fma_f16 v46, v93, s14, -v234
	v_fma_f16 v255, v97, s22, v254
	v_add_f16_e32 v45, v46, v45
	v_fma_f16 v46, v96, s25, -v235
	v_add_f16_e32 v250, v255, v250
	v_mul_f16_e32 v255, 0x3bf7, v147
	v_add_f16_e32 v45, v46, v45
	v_fma_f16 v46, v97, s17, -v236
	buffer_store_dword v56, off, s[40:43], 0 offset:28 ; 4-byte Folded Spill
	v_fma_f16 v56, v100, s17, v255
	v_add_f16_e32 v45, v46, v45
	v_fma_f16 v46, v100, s15, -v237
	v_add_f16_e32 v56, v56, v250
	v_mul_f16_e32 v250, 0xb5c8, v151
	v_add_f16_e32 v45, v46, v45
	v_fma_f16 v46, v101, s22, -v238
	v_fma_f16 v66, v101, s14, v250
	v_add_f16_e32 v45, v46, v45
	v_fma_f16 v46, v103, s19, -v239
	v_add_f16_e32 v56, v66, v56
	v_mul_f16_e32 v66, 0xba62, v154
	v_add_f16_e32 v45, v46, v45
	v_fma_f16 v46, v91, s30, v240
	v_fma_f16 v106, v103, s20, v66
	v_add_f16_e32 v46, v73, v46
	v_fma_f16 v47, v94, s31, v242
	v_add_f16_e32 v56, v106, v56
	v_mul_f16_e32 v106, 0x2de8, v128
	v_add_f16_e32 v46, v47, v46
	v_fma_f16 v47, v95, s36, v243
	v_fma_f16 v107, v91, s38, v106
	v_mul_f16_e32 v24, 0xbbdd, v134
	v_add_f16_e32 v46, v47, v46
	v_fma_f16 v47, v98, s21, v244
	v_add_f16_e32 v107, v73, v107
	v_fma_f16 v109, v94, s34, v24
	;; [unrolled: 2-line block ×3, first 2 shown]
	v_add_f16_e32 v107, v109, v107
	v_mul_f16_e32 v109, 0xb461, v139
	v_add_f16_e32 v46, v47, v46
	v_fma_f16 v47, v102, s38, v246
	v_fma_f16 v214, v95, s30, v109
	v_add_f16_e32 v46, v47, v46
	v_fma_f16 v47, v104, s16, v247
	v_add_f16_e32 v107, v214, v107
	v_mul_f16_e32 v214, 0x3b76, v145
	v_add_f16_e32 v46, v47, v46
	v_fma_f16 v47, v105, s23, v248
	v_fma_f16 v223, v98, s16, v214
	v_add_f16_e32 v46, v47, v46
	v_fma_f16 v47, v90, s24, -v249
	v_add_f16_e32 v107, v223, v107
	v_mul_f16_e32 v223, 0x3722, v149
	v_add_f16_e32 v47, v37, v47
	v_fma_f16 v48, v92, s25, -v251
	v_fma_f16 v59, v99, s35, v223
	v_add_f16_e32 v47, v48, v47
	v_fma_f16 v48, v93, s15, -v252
	v_add_f16_e32 v59, v59, v107
	v_mul_f16_e32 v107, 0xbacd, v153
	v_add_f16_e32 v47, v48, v47
	v_fma_f16 v48, v96, s19, -v253
	v_fma_f16 v60, v102, s31, v107
	v_add_f16_e32 v47, v48, v47
	v_fma_f16 v48, v97, s22, -v254
	v_mul_f16_e32 v185, 0x39e9, v90
	v_add_f16_e32 v59, v60, v59
	v_mul_f16_e32 v60, 0xb8d2, v155
	v_add_f16_e32 v47, v48, v47
	v_fma_f16 v48, v100, s17, -v255
	v_mul_f16_e32 v163, 0x2de8, v92
	v_fma_f16 v61, v104, s23, v60
	v_add_f16_e32 v114, v185, v114
	v_add_f16_e32 v47, v48, v47
	v_fma_f16 v48, v101, s14, -v250
	v_mul_f16_e32 v167, 0xb8d2, v93
	v_add_f16_e32 v59, v61, v59
	v_mul_f16_e32 v61, 0x39e9, v156
	v_add_f16_e32 v114, v37, v114
	v_add_f16_e32 v117, v163, v117
	;; [unrolled: 1-line block ×3, first 2 shown]
	v_fma_f16 v48, v103, s20, -v66
	v_mul_f16_e32 v171, 0xbbdd, v96
	v_fma_f16 v62, v105, s26, v61
	v_add_f16_e32 v114, v117, v114
	v_add_f16_e32 v117, v167, v123
	;; [unrolled: 1-line block ×3, first 2 shown]
	v_fma_f16 v48, v91, s18, v106
	v_mul_f16_e32 v175, 0xbacd, v97
	buffer_store_dword v56, off, s[40:43], 0 offset:32 ; 4-byte Folded Spill
	v_add_f16_e32 v56, v62, v59
	v_mul_f16_e32 v62, 0xbbf7, v121
	v_add_f16_e32 v114, v117, v114
	v_add_f16_e32 v117, v171, v127
	;; [unrolled: 1-line block ×3, first 2 shown]
	v_fma_f16 v24, v94, s27, v24
	v_mul_f16_e32 v179, 0xb461, v100
	v_fma_f16 v63, v90, s17, v62
	v_mul_f16_e32 v67, 0xb1e1, v126
	v_add_f16_e32 v114, v117, v114
	v_add_f16_e32 v117, v175, v135
	;; [unrolled: 1-line block ×3, first 2 shown]
	v_fma_f16 v48, v95, s28, v109
	v_mul_f16_e32 v183, 0x3722, v101
	v_add_f16_e32 v63, v37, v63
	v_fma_f16 v232, v92, s22, v67
	v_add_f16_e32 v114, v117, v114
	v_add_f16_e32 v117, v179, v140
	;; [unrolled: 1-line block ×3, first 2 shown]
	v_fma_f16 v48, v98, s33, v214
	v_mul_f16_e32 v187, 0x3b76, v103
	v_add_f16_e32 v63, v232, v63
	v_mul_f16_e32 v232, 0x3bb2, v131
	v_add_f16_e32 v114, v117, v114
	v_add_f16_e32 v117, v183, v144
	v_add_f16_e32 v24, v48, v24
	v_fma_f16 v48, v99, s21, v223
	v_fma_f16 v241, v93, s24, v232
	v_add_f16_e32 v114, v117, v114
	v_add_f16_e32 v117, v187, v148
	v_add_f16_e32 v24, v48, v24
	v_fma_f16 v48, v102, s29, v107
	v_add_f16_e32 v63, v241, v63
	v_mul_f16_e32 v241, 0x35c8, v138
	v_add_f16_e32 v114, v117, v114
	v_mul_f16_e32 v117, 0xb5c8, v91
	v_add_f16_e32 v24, v48, v24
	v_fma_f16 v48, v104, s37, v60
	buffer_store_dword v56, off, s[40:43], 0 offset:36 ; 4-byte Folded Spill
	v_fma_f16 v56, v96, s14, v241
	v_sub_f16_e32 v111, v111, v117
	v_mul_f16_e32 v117, 0xb964, v94
	v_add_f16_e32 v24, v48, v24
	v_fma_f16 v48, v105, s36, v61
	v_add_f16_e32 v56, v56, v63
	v_mul_f16_e32 v63, 0xbb29, v143
	v_add_f16_e32 v111, v73, v111
	v_sub_f16_e32 v112, v112, v117
	v_add_f16_e32 v24, v48, v24
	v_fma_f16 v48, v90, s17, -v62
	v_fma_f16 v161, v97, s19, v63
	v_add_f16_e32 v111, v112, v111
	v_mul_f16_e32 v112, 0xbb29, v95
	v_add_f16_e32 v48, v37, v48
	v_fma_f16 v50, v92, s22, -v67
	v_add_f16_e32 v56, v161, v56
	v_mul_f16_e32 v161, 0xb836, v147
	v_sub_f16_e32 v112, v116, v112
	v_add_f16_e32 v48, v50, v48
	v_fma_f16 v50, v93, s24, -v232
	v_fma_f16 v59, v100, s25, v161
	v_add_f16_e32 v111, v112, v111
	v_mul_f16_e32 v112, 0xbbf7, v98
	v_add_f16_e32 v48, v50, v48
	v_fma_f16 v50, v96, s14, -v241
	v_mul_f16_e32 v174, 0xbbb2, v99
	v_add_f16_e32 v56, v59, v56
	v_mul_f16_e32 v59, 0x3a62, v151
	v_sub_f16_e32 v112, v119, v112
	v_add_f16_e32 v48, v50, v48
	v_fma_f16 v50, v97, s19, -v63
	v_mul_f16_e32 v178, 0xba62, v102
	v_fma_f16 v165, v101, s20, v59
	v_add_f16_e32 v111, v112, v111
	v_sub_f16_e32 v112, v125, v174
	v_add_f16_e32 v48, v50, v48
	v_fma_f16 v50, v100, s25, -v161
	v_mul_f16_e32 v182, 0xb836, v104
	v_add_f16_e32 v56, v165, v56
	v_mul_f16_e32 v165, 0x3964, v154
	v_add_f16_e32 v111, v112, v111
	v_sub_f16_e32 v112, v132, v178
	v_add_f16_e32 v48, v50, v48
	v_fma_f16 v50, v101, s20, -v59
	buffer_store_dword v68, off, s[40:43], 0 ; 4-byte Folded Spill
	v_mov_b32_e32 v68, v169
	v_mul_f16_e32 v186, 0xb1e1, v105
	v_fma_f16 v169, v103, s15, v165
	v_mul_f16_e32 v128, 0x3722, v128
	v_add_f16_e32 v111, v112, v111
	v_sub_f16_e32 v112, v137, v182
	v_add_f16_e32 v48, v50, v48
	v_fma_f16 v50, v103, s15, -v165
	v_add_f16_e32 v56, v169, v56
	v_fma_f16 v169, v91, s35, v128
	v_mul_f16_e32 v134, 0xb8d2, v134
	v_add_f16_e32 v111, v112, v111
	v_sub_f16_e32 v112, v142, v186
	v_add_f16_e32 v48, v50, v48
	v_fma_f16 v50, v91, s21, v128
	v_add_f16_e32 v169, v73, v169
	v_fma_f16 v173, v94, s37, v134
	v_mul_f16_e32 v139, 0xbbdd, v139
	v_add_f16_e32 v111, v112, v111
	v_mul_f16_e32 v112, 0x3b76, v90
	v_add_f16_e32 v39, v74, v73
	v_add_f16_e32 v50, v73, v50
	v_fma_f16 v51, v94, s23, v134
	v_add_f16_e32 v169, v173, v169
	v_fma_f16 v173, v95, s27, v139
	v_mul_f16_e32 v145, 0xb461, v145
	v_add_f16_e32 v108, v112, v108
	v_mul_f16_e32 v112, 0x39e9, v92
	v_add_f16_e32 v39, v76, v39
	v_add_f16_e32 v50, v51, v50
	v_fma_f16 v51, v95, s34, v139
	v_add_f16_e32 v169, v173, v169
	v_fma_f16 v173, v98, s30, v145
	v_mul_f16_e32 v149, 0x39e9, v149
	v_add_f16_e32 v108, v37, v108
	v_add_f16_e32 v110, v112, v110
	;; [unrolled: 1-line block ×4, first 2 shown]
	v_fma_f16 v51, v98, s28, v145
	v_add_f16_e32 v169, v173, v169
	v_fma_f16 v173, v99, s26, v149
	v_mul_f16_e32 v153, 0x3b76, v153
	v_add_f16_e32 v108, v110, v108
	v_mul_f16_e32 v110, 0x3722, v93
	v_add_f16_e32 v39, v75, v39
	v_add_f16_e32 v50, v51, v50
	v_fma_f16 v51, v99, s36, v149
	v_add_f16_e32 v169, v173, v169
	v_fma_f16 v173, v102, s33, v153
	v_mul_f16_e32 v155, 0x2de8, v155
	v_add_f16_e32 v110, v110, v113
	v_add_f16_e32 v39, v78, v39
	;; [unrolled: 1-line block ×3, first 2 shown]
	v_fma_f16 v51, v102, s16, v153
	v_add_f16_e32 v169, v173, v169
	v_fma_f16 v173, v104, s38, v155
	v_mul_f16_e32 v156, 0xbacd, v156
	v_add_f16_e32 v108, v110, v108
	v_mul_f16_e32 v110, 0x2de8, v96
	v_add_f16_e32 v39, v79, v39
	v_add_f16_e32 v50, v51, v50
	v_fma_f16 v51, v104, s18, v155
	v_add_f16_e32 v169, v173, v169
	v_fma_f16 v173, v105, s31, v156
	v_mul_f16_e32 v121, 0xbb29, v121
	v_add_f16_e32 v110, v110, v115
	v_add_f16_e32 v39, v82, v39
	;; [unrolled: 1-line block ×3, first 2 shown]
	v_fma_f16 v51, v105, s29, v156
	v_mul_f16_e32 v162, 0xb964, v91
	v_add_f16_e32 v169, v173, v169
	v_fma_f16 v173, v90, s19, v121
	v_mul_f16_e32 v126, 0xba62, v126
	v_add_f16_e32 v108, v110, v108
	v_mul_f16_e32 v110, 0xb461, v97
	v_add_f16_e32 v39, v83, v39
	v_add_f16_e32 v50, v51, v50
	v_fma_f16 v51, v90, s19, -v121
	v_mul_f16_e32 v164, 0xbbf7, v94
	v_add_f16_e32 v173, v37, v173
	v_mul_f16_e32 v131, 0x31e1, v131
	v_sub_f16_e32 v118, v118, v162
	v_add_f16_e32 v110, v110, v120
	v_add_f16_e32 v39, v80, v39
	;; [unrolled: 1-line block ×3, first 2 shown]
	v_fma_f16 v51, v92, s20, -v126
	v_mul_f16_e32 v168, 0xba62, v95
	v_fma_f16 v177, v92, s20, v126
	v_mul_f16_e32 v138, 0x3bb2, v138
	v_add_f16_e32 v118, v73, v118
	v_sub_f16_e32 v122, v122, v164
	v_add_f16_e32 v108, v110, v108
	v_mul_f16_e32 v110, 0xb8d2, v100
	v_add_f16_e32 v39, v85, v39
	v_add_f16_e32 v37, v51, v37
	v_fma_f16 v51, v93, s22, -v131
	v_mul_f16_e32 v172, 0xb1e1, v98
	v_add_f16_e32 v173, v177, v173
	v_fma_f16 v177, v93, s22, v131
	v_mul_f16_e32 v143, 0x3964, v143
	v_add_f16_e32 v118, v122, v118
	v_sub_f16_e32 v122, v129, v168
	v_add_f16_e32 v110, v110, v124
	v_add_f16_e32 v39, v86, v39
	;; [unrolled: 1-line block ×3, first 2 shown]
	v_fma_f16 v51, v96, s24, -v138
	v_mul_f16_e32 v176, 0x3836, v99
	v_add_f16_e32 v173, v177, v173
	v_fma_f16 v177, v96, s24, v138
	v_mul_f16_e32 v147, 0xb5c8, v147
	v_add_f16_e32 v118, v122, v118
	v_sub_f16_e32 v122, v133, v172
	v_add_f16_e32 v108, v110, v108
	v_mul_f16_e32 v110, 0xbacd, v101
	v_add_f16_e32 v39, v88, v39
	v_add_f16_e32 v37, v51, v37
	v_fma_f16 v51, v97, s15, -v143
	v_mul_f16_e32 v180, 0x3bb2, v102
	v_add_f16_e32 v173, v177, v173
	v_fma_f16 v177, v97, s15, v143
	v_mul_f16_e32 v151, 0xbbf7, v151
	v_add_f16_e32 v118, v122, v118
	v_sub_f16_e32 v122, v141, v176
	v_add_f16_e32 v110, v110, v130
	v_add_f16_e32 v39, v89, v39
	;; [unrolled: 1-line block ×3, first 2 shown]
	v_fma_f16 v51, v100, s14, -v147
	v_mul_f16_e32 v184, 0x3b29, v104
	v_add_f16_e32 v173, v177, v173
	v_fma_f16 v177, v100, s14, v147
	v_mul_f16_e32 v154, 0xb836, v154
	v_add_f16_e32 v118, v122, v118
	v_sub_f16_e32 v122, v146, v180
	v_add_f16_e32 v108, v110, v108
	v_mul_f16_e32 v110, 0xbbdd, v103
	v_add_f16_e32 v39, v87, v39
	v_add_f16_e32 v37, v51, v37
	v_fma_f16 v51, v101, s17, -v151
	v_mul_f16_e32 v188, 0x35c8, v105
	v_add_f16_e32 v173, v177, v173
	v_fma_f16 v177, v101, s17, v151
	v_add_f16_e32 v118, v122, v118
	v_sub_f16_e32 v122, v150, v184
	v_add_f16_e32 v110, v110, v136
	v_add_f16_e32 v39, v70, v39
	;; [unrolled: 1-line block ×3, first 2 shown]
	v_fma_f16 v51, v103, s25, -v154
	v_add_f16_e32 v173, v177, v173
	v_fma_f16 v177, v103, s25, v154
	v_add_f16_e32 v118, v122, v118
	v_sub_f16_e32 v122, v152, v188
	v_add_f16_e32 v108, v110, v108
	v_add_f16_e32 v38, v72, v38
	;; [unrolled: 1-line block ×4, first 2 shown]
	v_mul_lo_u16_e32 v51, 17, v55
	v_add_f16_e32 v173, v177, v173
	v_add_f16_e32 v118, v122, v118
	v_lshlrev_b32_e32 v51, 2, v51
	v_pack_b32_f16 v52, v108, v111
	v_pack_b32_f16 v38, v38, v39
	ds_write2_b32 v51, v38, v52 offset1:1
	v_pack_b32_f16 v38, v114, v118
	v_pack_b32_f16 v39, v173, v169
	ds_write2_b32 v51, v38, v39 offset0:2 offset1:3
	v_mov_b32_e32 v169, v68
	buffer_load_dword v68, off, s[40:43], 0 ; 4-byte Folded Reload
	buffer_load_dword v38, off, s[40:43], 0 offset:28 ; 4-byte Folded Reload
	buffer_load_dword v39, off, s[40:43], 0 offset:32 ; 4-byte Folded Reload
	v_pack_b32_f16 v24, v48, v24
	s_mov_b32 s14, 0x5040100
	s_waitcnt vmcnt(0)
	v_pack_b32_f16 v38, v39, v38
	buffer_load_dword v39, off, s[40:43], 0 offset:36 ; 4-byte Folded Reload
	s_waitcnt vmcnt(0)
	v_pack_b32_f16 v39, v56, v39
	ds_write2_b32 v51, v39, v38 offset0:4 offset1:5
	buffer_load_dword v38, off, s[40:43], 0 offset:12 ; 4-byte Folded Reload
	buffer_load_dword v39, off, s[40:43], 0 offset:16 ; 4-byte Folded Reload
	s_waitcnt vmcnt(0)
	v_pack_b32_f16 v38, v39, v38
	buffer_load_dword v39, off, s[40:43], 0 offset:20 ; 4-byte Folded Reload
	buffer_load_dword v52, off, s[40:43], 0 offset:24 ; 4-byte Folded Reload
	s_waitcnt vmcnt(0)
	v_pack_b32_f16 v39, v52, v39
	ds_write2_b32 v51, v39, v38 offset0:6 offset1:7
	v_pack_b32_f16 v38, v41, v40
	buffer_load_dword v39, off, s[40:43], 0 offset:4 ; 4-byte Folded Reload
	buffer_load_dword v40, off, s[40:43], 0 offset:8 ; 4-byte Folded Reload
	s_waitcnt vmcnt(0)
	v_pack_b32_f16 v39, v40, v39
	ds_write2_b32 v51, v39, v38 offset0:8 offset1:9
	v_pack_b32_f16 v38, v45, v44
	v_pack_b32_f16 v39, v43, v42
	ds_write2_b32 v51, v39, v38 offset0:10 offset1:11
	v_pack_b32_f16 v38, v47, v46
	ds_write2_b32 v51, v38, v24 offset0:12 offset1:13
	v_pack_b32_f16 v24, v37, v50
	v_perm_b32 v37, v81, v49, s14
	ds_write2_b32 v51, v24, v37 offset0:14 offset1:15
	v_perm_b32 v24, v84, v35, s14
	ds_write_b32 v51, v24 offset:64
.LBB0_17:
	s_or_b64 exec, exec, s[4:5]
	v_add_u32_e32 v24, 0x400, v57
	s_waitcnt lgkmcnt(0)
	s_barrier
	ds_read2_b32 v[39:40], v24 offset0:152 offset1:254
	v_add_u32_e32 v24, 0xe00, v57
	ds_read2_b32 v[41:42], v24 offset0:124 offset1:226
	v_add_u32_e32 v43, 0x800, v57
	ds_read2_b32 v[43:44], v43 offset0:100 offset1:202
	s_waitcnt lgkmcnt(2)
	v_lshrrev_b32_e32 v53, 16, v40
	v_mul_f16_sdwa v78, v25, v53 dst_sel:DWORD dst_unused:UNUSED_PAD src0_sel:WORD_1 src1_sel:DWORD
	s_waitcnt lgkmcnt(1)
	v_lshrrev_b32_e32 v56, 16, v41
	v_fma_f16 v78, v25, v40, v78
	v_mul_f16_sdwa v40, v25, v40 dst_sel:DWORD dst_unused:UNUSED_PAD src0_sel:WORD_1 src1_sel:DWORD
	v_fma_f16 v25, v25, v53, -v40
	v_mul_f16_sdwa v40, v26, v56 dst_sel:DWORD dst_unused:UNUSED_PAD src0_sel:WORD_1 src1_sel:DWORD
	s_waitcnt lgkmcnt(0)
	v_lshrrev_b32_e32 v61, 16, v43
	v_add_u32_e32 v63, 0x1200, v57
	v_fma_f16 v40, v26, v41, v40
	v_mul_f16_sdwa v41, v26, v41 dst_sel:DWORD dst_unused:UNUSED_PAD src0_sel:WORD_1 src1_sel:DWORD
	ds_read2_b32 v[47:48], v63 offset0:72 offset1:174
	v_fma_f16 v26, v26, v56, -v41
	v_mul_f16_sdwa v41, v27, v61 dst_sel:DWORD dst_unused:UNUSED_PAD src0_sel:WORD_1 src1_sel:DWORD
	v_lshrrev_b32_e32 v62, 16, v42
	v_add_u32_e32 v50, 0xc00, v57
	v_fma_f16 v41, v27, v43, v41
	v_mul_f16_sdwa v43, v27, v43 dst_sel:DWORD dst_unused:UNUSED_PAD src0_sel:WORD_1 src1_sel:DWORD
	ds_read2_b32 v[50:51], v50 offset0:48 offset1:150
	v_fma_f16 v27, v27, v61, -v43
	v_mul_f16_sdwa v43, v28, v62 dst_sel:DWORD dst_unused:UNUSED_PAD src0_sel:WORD_1 src1_sel:DWORD
	v_lshrrev_b32_e32 v67, 16, v44
	v_fma_f16 v43, v28, v42, v43
	v_mul_f16_sdwa v42, v28, v42 dst_sel:DWORD dst_unused:UNUSED_PAD src0_sel:WORD_1 src1_sel:DWORD
	v_fma_f16 v28, v28, v62, -v42
	v_mul_f16_sdwa v42, v29, v67 dst_sel:DWORD dst_unused:UNUSED_PAD src0_sel:WORD_1 src1_sel:DWORD
	s_waitcnt lgkmcnt(1)
	v_lshrrev_b32_e32 v70, 16, v47
	v_fma_f16 v42, v29, v44, v42
	v_mul_f16_sdwa v44, v29, v44 dst_sel:DWORD dst_unused:UNUSED_PAD src0_sel:WORD_1 src1_sel:DWORD
	v_fma_f16 v29, v29, v67, -v44
	v_mul_f16_sdwa v44, v30, v70 dst_sel:DWORD dst_unused:UNUSED_PAD src0_sel:WORD_1 src1_sel:DWORD
	s_waitcnt lgkmcnt(0)
	v_lshrrev_b32_e32 v73, 16, v50
	v_fma_f16 v44, v30, v47, v44
	v_mul_f16_sdwa v47, v30, v47 dst_sel:DWORD dst_unused:UNUSED_PAD src0_sel:WORD_1 src1_sel:DWORD
	ds_read_b32 v72, v57 offset:5712
	v_fma_f16 v30, v30, v70, -v47
	v_mul_f16_sdwa v47, v31, v73 dst_sel:DWORD dst_unused:UNUSED_PAD src0_sel:WORD_1 src1_sel:DWORD
	v_lshrrev_b32_e32 v74, 16, v48
	v_fma_f16 v47, v31, v50, v47
	v_mul_f16_sdwa v50, v31, v50 dst_sel:DWORD dst_unused:UNUSED_PAD src0_sel:WORD_1 src1_sel:DWORD
	v_fma_f16 v31, v31, v73, -v50
	v_mul_f16_sdwa v50, v32, v74 dst_sel:DWORD dst_unused:UNUSED_PAD src0_sel:WORD_1 src1_sel:DWORD
	ds_read2_b32 v[37:38], v57 offset1:102
	v_lshrrev_b32_e32 v76, 16, v51
	v_fma_f16 v50, v32, v48, v50
	v_mul_f16_sdwa v48, v32, v48 dst_sel:DWORD dst_unused:UNUSED_PAD src0_sel:WORD_1 src1_sel:DWORD
	v_fma_f16 v32, v32, v74, -v48
	v_mul_f16_sdwa v48, v33, v76 dst_sel:DWORD dst_unused:UNUSED_PAD src0_sel:WORD_1 src1_sel:DWORD
	s_waitcnt lgkmcnt(1)
	v_lshrrev_b32_e32 v77, 16, v72
	v_fma_f16 v53, v33, v51, v48
	v_mul_f16_sdwa v48, v33, v51 dst_sel:DWORD dst_unused:UNUSED_PAD src0_sel:WORD_1 src1_sel:DWORD
	v_fma_f16 v33, v33, v76, -v48
	v_mul_f16_sdwa v48, v34, v77 dst_sel:DWORD dst_unused:UNUSED_PAD src0_sel:WORD_1 src1_sel:DWORD
	v_fma_f16 v51, v34, v72, v48
	v_mul_f16_sdwa v48, v34, v72 dst_sel:DWORD dst_unused:UNUSED_PAD src0_sel:WORD_1 src1_sel:DWORD
	v_fma_f16 v34, v34, v77, -v48
	s_waitcnt lgkmcnt(0)
	v_add_f16_e32 v48, v37, v78
	v_add_f16_e32 v56, v48, v40
	;; [unrolled: 1-line block ×3, first 2 shown]
	v_lshrrev_b32_e32 v52, 16, v37
	v_fma_f16 v37, v48, -0.5, v37
	v_sub_f16_e32 v48, v25, v26
	s_mov_b32 s15, 0xbaee
	s_movk_i32 s14, 0x3aee
	v_fma_f16 v61, v48, s15, v37
	v_fma_f16 v37, v48, s14, v37
	v_add_f16_e32 v48, v52, v25
	v_add_f16_e32 v25, v25, v26
	;; [unrolled: 1-line block ×3, first 2 shown]
	v_fma_f16 v25, v25, -0.5, v52
	v_sub_f16_e32 v26, v78, v40
	v_add_u32_e32 v60, 0x200, v57
	v_fma_f16 v40, v26, s14, v25
	v_fma_f16 v52, v26, s15, v25
	v_add_f16_e32 v25, v38, v41
	ds_read2_b32 v[45:46], v60 offset0:76 offset1:178
	v_add_f16_e32 v67, v25, v43
	v_add_f16_e32 v25, v41, v43
	v_lshrrev_b32_e32 v59, 16, v38
	v_fma_f16 v25, v25, -0.5, v38
	v_sub_f16_e32 v26, v27, v28
	v_fma_f16 v38, v26, s15, v25
	v_fma_f16 v70, v26, s14, v25
	v_add_f16_e32 v25, v59, v27
	v_add_f16_e32 v72, v25, v28
	;; [unrolled: 1-line block ×3, first 2 shown]
	v_fma_f16 v25, v25, -0.5, v59
	v_sub_f16_e32 v26, v41, v43
	v_fma_f16 v27, v26, s14, v25
	v_fma_f16 v28, v26, s15, v25
	s_waitcnt lgkmcnt(0)
	v_add_f16_e32 v25, v45, v42
	v_add_f16_e32 v59, v25, v44
	;; [unrolled: 1-line block ×3, first 2 shown]
	v_lshrrev_b32_e32 v66, 16, v45
	v_fma_f16 v25, v25, -0.5, v45
	v_sub_f16_e32 v26, v29, v30
	v_fma_f16 v45, v26, s15, v25
	v_fma_f16 v73, v26, s14, v25
	v_add_f16_e32 v25, v66, v29
	v_add_f16_e32 v74, v25, v30
	;; [unrolled: 1-line block ×3, first 2 shown]
	v_fma_f16 v25, v25, -0.5, v66
	v_sub_f16_e32 v26, v42, v44
	v_fma_f16 v29, v26, s14, v25
	v_fma_f16 v30, v26, s15, v25
	v_add_f16_e32 v25, v46, v47
	v_add_f16_e32 v44, v25, v50
	;; [unrolled: 1-line block ×3, first 2 shown]
	v_lshrrev_b32_e32 v71, 16, v46
	v_fma_f16 v25, v25, -0.5, v46
	v_sub_f16_e32 v26, v31, v32
	v_fma_f16 v46, v26, s15, v25
	v_fma_f16 v66, v26, s14, v25
	v_add_f16_e32 v25, v71, v31
	v_add_f16_e32 v76, v25, v32
	;; [unrolled: 1-line block ×3, first 2 shown]
	v_fma_f16 v25, v25, -0.5, v71
	v_sub_f16_e32 v26, v47, v50
	v_fma_f16 v31, v26, s14, v25
	v_fma_f16 v32, v26, s15, v25
	v_add_f16_e32 v26, v53, v51
	v_lshrrev_b32_e32 v75, 16, v39
	v_add_f16_e32 v25, v39, v53
	v_fma_f16 v39, v26, -0.5, v39
	v_sub_f16_e32 v41, v33, v34
	v_fma_f16 v26, v41, s15, v39
	v_fma_f16 v48, v41, s14, v39
	v_add_f16_e32 v39, v75, v33
	v_add_f16_e32 v33, v33, v34
	;; [unrolled: 1-line block ×3, first 2 shown]
	v_fma_f16 v33, v33, -0.5, v75
	v_sub_f16_e32 v34, v53, v51
	v_fma_f16 v42, v34, s14, v33
	v_fma_f16 v43, v34, s15, v33
	v_pack_b32_f16 v33, v56, v62
	v_pack_b32_f16 v34, v61, v40
	s_barrier
	ds_write2_b32 v158, v33, v34 offset1:17
	v_pack_b32_f16 v33, v37, v52
	ds_write_b32 v158, v33 offset:136
	v_pack_b32_f16 v33, v67, v72
	v_pack_b32_f16 v27, v38, v27
	ds_write2_b32 v159, v33, v27 offset1:17
	v_pack_b32_f16 v27, v70, v28
	ds_write_b32 v159, v27 offset:136
	v_pack_b32_f16 v27, v59, v74
	v_pack_b32_f16 v28, v45, v29
	;; [unrolled: 5-line block ×3, first 2 shown]
	v_add_f16_e32 v25, v25, v51
	ds_write2_b32 v160, v27, v28 offset1:17
	v_pack_b32_f16 v27, v66, v32
	ds_write_b32 v160, v27 offset:136
	v_pack_b32_f16 v27, v25, v41
	v_pack_b32_f16 v28, v26, v42
	ds_write2_b32 v166, v27, v28 offset1:17
	v_pack_b32_f16 v27, v48, v43
	v_add_u32_e32 v29, 0x600, v57
	ds_write_b32 v166, v27 offset:136
	s_waitcnt lgkmcnt(0)
	s_barrier
	ds_read2_b32 v[27:28], v57 offset1:102
	ds_read2_b32 v[33:34], v60 offset0:127 offset1:229
	ds_read2_b32 v[37:38], v29 offset0:126 offset1:228
	v_add_u32_e32 v29, 0xa00, v57
	ds_read2_b32 v[39:40], v29 offset0:125 offset1:227
	ds_read2_b32 v[31:32], v24 offset0:124 offset1:226
	;; [unrolled: 1-line block ×3, first 2 shown]
	s_and_saveexec_b64 s[4:5], s[2:3]
	s_cbranch_execz .LBB0_19
; %bb.18:
	v_add_u32_e32 v24, 0x330, v57
	ds_read2_b32 v[25:26], v24 offset1:255
	v_add_u32_e32 v24, 0xb28, v57
	ds_read2_b32 v[48:49], v24 offset1:255
	;; [unrolled: 2-line block ×3, first 2 shown]
	s_waitcnt lgkmcnt(2)
	v_lshrrev_b32_e32 v41, 16, v25
	v_lshrrev_b32_e32 v42, 16, v26
	s_waitcnt lgkmcnt(1)
	v_lshrrev_b32_e32 v43, 16, v48
	v_lshrrev_b32_e32 v81, 16, v49
	;; [unrolled: 3-line block ×3, first 2 shown]
.LBB0_19:
	s_or_b64 exec, exec, s[4:5]
	s_waitcnt lgkmcnt(4)
	v_lshrrev_b32_e32 v44, 16, v33
	v_mul_f16_sdwa v61, v4, v44 dst_sel:DWORD dst_unused:UNUSED_PAD src0_sel:WORD_1 src1_sel:DWORD
	s_waitcnt lgkmcnt(3)
	v_lshrrev_b32_e32 v45, 16, v37
	v_fma_f16 v61, v4, v33, v61
	v_mul_f16_sdwa v33, v4, v33 dst_sel:DWORD dst_unused:UNUSED_PAD src0_sel:WORD_1 src1_sel:DWORD
	v_fma_f16 v4, v4, v44, -v33
	v_mul_f16_sdwa v33, v5, v45 dst_sel:DWORD dst_unused:UNUSED_PAD src0_sel:WORD_1 src1_sel:DWORD
	s_waitcnt lgkmcnt(2)
	v_lshrrev_b32_e32 v46, 16, v39
	v_fma_f16 v33, v5, v37, v33
	v_mul_f16_sdwa v37, v5, v37 dst_sel:DWORD dst_unused:UNUSED_PAD src0_sel:WORD_1 src1_sel:DWORD
	v_fma_f16 v5, v5, v45, -v37
	;; [unrolled: 6-line block ×3, first 2 shown]
	v_mul_f16_sdwa v39, v7, v47 dst_sel:DWORD dst_unused:UNUSED_PAD src0_sel:WORD_1 src1_sel:DWORD
	v_fma_f16 v39, v7, v31, v39
	v_mul_f16_sdwa v31, v7, v31 dst_sel:DWORD dst_unused:UNUSED_PAD src0_sel:WORD_1 src1_sel:DWORD
	s_waitcnt lgkmcnt(0)
	v_lshrrev_b32_e32 v50, 16, v29
	v_fma_f16 v7, v7, v47, -v31
	v_add_f16_e32 v46, v33, v39
	v_lshrrev_b32_e32 v24, 16, v27
	v_lshrrev_b32_e32 v52, 16, v34
	v_mul_f16_sdwa v31, v64, v50 dst_sel:DWORD dst_unused:UNUSED_PAD src0_sel:WORD_1 src1_sel:DWORD
	v_add_f16_e32 v45, v27, v33
	v_fma_f16 v27, v46, -0.5, v27
	v_sub_f16_e32 v46, v5, v7
	v_fma_f16 v31, v64, v29, v31
	v_mul_f16_sdwa v29, v64, v29 dst_sel:DWORD dst_unused:UNUSED_PAD src0_sel:WORD_1 src1_sel:DWORD
	v_mul_f16_sdwa v44, v8, v52 dst_sel:DWORD dst_unused:UNUSED_PAD src0_sel:WORD_1 src1_sel:DWORD
	v_fma_f16 v47, v46, s15, v27
	v_fma_f16 v27, v46, s14, v27
	v_add_f16_e32 v46, v24, v5
	v_lshrrev_b32_e32 v53, 16, v38
	v_fma_f16 v29, v64, v50, -v29
	v_fma_f16 v44, v8, v34, v44
	v_mul_f16_sdwa v34, v8, v34 dst_sel:DWORD dst_unused:UNUSED_PAD src0_sel:WORD_1 src1_sel:DWORD
	v_add_f16_e32 v46, v46, v7
	v_add_f16_e32 v5, v5, v7
	v_sub_f16_e32 v7, v33, v39
	v_add_f16_e32 v33, v37, v31
	v_fma_f16 v8, v8, v52, -v34
	v_mul_f16_sdwa v34, v9, v53 dst_sel:DWORD dst_unused:UNUSED_PAD src0_sel:WORD_1 src1_sel:DWORD
	v_add_f16_e32 v45, v45, v39
	v_fma_f16 v33, v33, -0.5, v61
	v_sub_f16_e32 v39, v6, v29
	v_lshrrev_b32_e32 v56, 16, v40
	v_fma_f16 v34, v9, v38, v34
	v_mul_f16_sdwa v38, v9, v38 dst_sel:DWORD dst_unused:UNUSED_PAD src0_sel:WORD_1 src1_sel:DWORD
	v_fma_f16 v50, v39, s15, v33
	v_fma_f16 v33, v39, s14, v33
	v_add_f16_e32 v39, v4, v6
	v_add_f16_e32 v6, v6, v29
	v_fma_f16 v9, v9, v53, -v38
	v_mul_f16_sdwa v38, v10, v56 dst_sel:DWORD dst_unused:UNUSED_PAD src0_sel:WORD_1 src1_sel:DWORD
	v_fma_f16 v5, v5, -0.5, v24
	v_fma_f16 v4, v6, -0.5, v4
	v_sub_f16_e32 v6, v37, v31
	v_lshrrev_b32_e32 v59, 16, v32
	v_fma_f16 v38, v10, v40, v38
	v_mul_f16_sdwa v40, v10, v40 dst_sel:DWORD dst_unused:UNUSED_PAD src0_sel:WORD_1 src1_sel:DWORD
	v_fma_f16 v24, v7, s14, v5
	v_fma_f16 v5, v7, s15, v5
	v_add_f16_e32 v7, v61, v37
	v_add_f16_e32 v39, v39, v29
	v_fma_f16 v29, v6, s14, v4
	v_fma_f16 v10, v10, v56, -v40
	v_mul_f16_sdwa v40, v11, v59 dst_sel:DWORD dst_unused:UNUSED_PAD src0_sel:WORD_1 src1_sel:DWORD
	v_add_f16_e32 v7, v7, v31
	v_fma_f16 v4, v6, s15, v4
	v_mul_f16_e32 v31, 0xbaee, v29
	v_mul_f16_e32 v29, 0.5, v29
	v_fma_f16 v40, v11, v32, v40
	v_mul_f16_sdwa v32, v11, v32 dst_sel:DWORD dst_unused:UNUSED_PAD src0_sel:WORD_1 src1_sel:DWORD
	v_mul_f16_e32 v52, 0xbaee, v4
	v_fma_f16 v29, v50, s14, v29
	v_mul_f16_e32 v4, -0.5, v4
	v_lshrrev_b32_e32 v60, 16, v30
	v_fma_f16 v11, v11, v59, -v32
	v_fma_f16 v31, v50, 0.5, v31
	v_add_f16_e32 v50, v24, v29
	v_fma_f16 v4, v33, s14, v4
	v_sub_f16_e32 v24, v24, v29
	v_add_f16_e32 v29, v34, v40
	v_lshrrev_b32_e32 v51, 16, v28
	v_mul_f16_sdwa v32, v65, v60 dst_sel:DWORD dst_unused:UNUSED_PAD src0_sel:WORD_1 src1_sel:DWORD
	v_fma_f16 v52, v33, -0.5, v52
	v_add_f16_e32 v33, v5, v4
	v_sub_f16_e32 v4, v5, v4
	v_add_f16_e32 v5, v28, v34
	v_fma_f16 v28, v29, -0.5, v28
	v_sub_f16_e32 v29, v9, v11
	v_fma_f16 v32, v65, v30, v32
	v_mul_f16_sdwa v30, v65, v30 dst_sel:DWORD dst_unused:UNUSED_PAD src0_sel:WORD_1 src1_sel:DWORD
	v_add_f16_e32 v6, v45, v7
	v_sub_f16_e32 v7, v45, v7
	v_fma_f16 v45, v29, s15, v28
	v_fma_f16 v28, v29, s14, v28
	v_add_f16_e32 v29, v51, v9
	v_add_f16_e32 v9, v9, v11
	v_fma_f16 v30, v65, v60, -v30
	v_add_f16_e32 v5, v5, v40
	v_add_f16_e32 v29, v29, v11
	v_fma_f16 v9, v9, -0.5, v51
	v_sub_f16_e32 v11, v34, v40
	v_add_f16_e32 v40, v38, v32
	v_fma_f16 v34, v11, s14, v9
	v_fma_f16 v9, v11, s15, v9
	v_add_f16_e32 v11, v44, v38
	v_fma_f16 v40, v40, -0.5, v44
	v_sub_f16_e32 v44, v10, v30
	v_add_f16_e32 v56, v46, v39
	v_sub_f16_e32 v39, v46, v39
	v_fma_f16 v46, v44, s15, v40
	v_fma_f16 v40, v44, s14, v40
	v_add_f16_e32 v44, v8, v10
	v_add_f16_e32 v10, v10, v30
	v_fma_f16 v8, v10, -0.5, v8
	v_sub_f16_e32 v10, v38, v32
	v_add_f16_e32 v44, v44, v30
	v_fma_f16 v30, v10, s14, v8
	v_fma_f16 v8, v10, s15, v8
	v_add_f16_e32 v37, v47, v31
	v_sub_f16_e32 v31, v47, v31
	v_mul_f16_e32 v47, 0xbaee, v8
	v_mul_f16_e32 v8, -0.5, v8
	v_fma_f16 v8, v40, s14, v8
	v_add_f16_e32 v53, v27, v52
	v_add_f16_e32 v11, v11, v32
	v_mul_f16_e32 v32, 0xbaee, v30
	v_fma_f16 v47, v40, -0.5, v47
	v_mul_f16_e32 v30, 0.5, v30
	v_add_f16_e32 v40, v9, v8
	v_sub_f16_e32 v8, v9, v8
	v_pack_b32_f16 v6, v6, v56
	v_pack_b32_f16 v9, v37, v50
	v_sub_f16_e32 v27, v27, v52
	v_fma_f16 v32, v46, 0.5, v32
	v_fma_f16 v30, v46, s14, v30
	s_barrier
	ds_write2_b32 v181, v6, v9 offset1:51
	v_pack_b32_f16 v6, v53, v33
	v_pack_b32_f16 v7, v7, v39
	v_add_f16_e32 v10, v5, v11
	v_add_f16_e32 v38, v45, v32
	;; [unrolled: 1-line block ×4, first 2 shown]
	ds_write2_b32 v181, v6, v7 offset0:102 offset1:153
	v_pack_b32_f16 v6, v31, v24
	v_pack_b32_f16 v4, v27, v4
	v_add_f16_e32 v51, v28, v47
	v_sub_f16_e32 v5, v5, v11
	v_sub_f16_e32 v29, v29, v44
	ds_write2_b32 v181, v6, v4 offset0:204 offset1:255
	v_pack_b32_f16 v4, v10, v52
	v_pack_b32_f16 v6, v38, v46
	v_sub_f16_e32 v11, v45, v32
	v_sub_f16_e32 v28, v28, v47
	;; [unrolled: 1-line block ×3, first 2 shown]
	ds_write2_b32 v69, v4, v6 offset1:51
	v_pack_b32_f16 v4, v51, v40
	v_pack_b32_f16 v5, v5, v29
	ds_write2_b32 v69, v4, v5 offset0:102 offset1:153
	v_pack_b32_f16 v4, v11, v30
	v_pack_b32_f16 v5, v28, v8
	ds_write2_b32 v69, v4, v5 offset0:204 offset1:255
	s_and_saveexec_b64 s[4:5], s[2:3]
	s_cbranch_execz .LBB0_21
; %bb.20:
	v_mul_f16_sdwa v10, v2, v81 dst_sel:DWORD dst_unused:UNUSED_PAD src0_sel:WORD_1 src1_sel:DWORD
	v_mul_f16_sdwa v27, v2, v49 dst_sel:DWORD dst_unused:UNUSED_PAD src0_sel:WORD_1 src1_sel:DWORD
	;; [unrolled: 1-line block ×6, first 2 shown]
	v_fma_f16 v10, v2, v49, v10
	v_mul_f16_sdwa v11, v58, v170 dst_sel:DWORD dst_unused:UNUSED_PAD src0_sel:WORD_1 src1_sel:DWORD
	v_fma_f16 v2, v2, v81, -v27
	v_mul_f16_sdwa v27, v58, v36 dst_sel:DWORD dst_unused:UNUSED_PAD src0_sel:WORD_1 src1_sel:DWORD
	v_fma_f16 v4, v1, v43, -v4
	v_fma_f16 v5, v3, v84, -v5
	v_fma_f16 v1, v1, v48, v7
	v_mul_f16_sdwa v7, v3, v84 dst_sel:DWORD dst_unused:UNUSED_PAD src0_sel:WORD_1 src1_sel:DWORD
	v_fma_f16 v9, v0, v26, v9
	v_fma_f16 v11, v58, v36, v11
	v_fma_f16 v27, v58, v170, -v27
	v_mul_f16_sdwa v26, v0, v26 dst_sel:DWORD dst_unused:UNUSED_PAD src0_sel:WORD_1 src1_sel:DWORD
	v_add_f16_e32 v6, v4, v5
	v_fma_f16 v3, v3, v35, v7
	v_add_f16_e32 v24, v10, v11
	v_fma_f16 v0, v0, v42, -v26
	v_add_f16_e32 v26, v2, v27
	v_fma_f16 v6, v6, -0.5, v41
	v_sub_f16_e32 v7, v1, v3
	s_mov_b32 s2, 0xbaee
	v_fma_f16 v24, v24, -0.5, v9
	v_sub_f16_e32 v28, v2, v27
	s_movk_i32 s3, 0x3aee
	v_fma_f16 v26, v26, -0.5, v0
	v_sub_f16_e32 v30, v10, v11
	v_add_f16_e32 v0, v0, v2
	v_fma_f16 v8, v7, s2, v6
	v_fma_f16 v29, v28, s3, v24
	;; [unrolled: 1-line block ×5, first 2 shown]
	v_add_f16_e32 v0, v0, v27
	v_add_f16_e32 v27, v1, v3
	;; [unrolled: 1-line block ×3, first 2 shown]
	v_fma_f16 v31, v30, s2, v26
	v_mul_f16_e32 v26, 0.5, v24
	v_add_f16_e32 v30, v41, v4
	v_fma_f16 v27, v27, -0.5, v25
	v_sub_f16_e32 v4, v4, v5
	v_mul_f16_e32 v24, 0xbaee, v24
	v_add_f16_e32 v1, v1, v3
	v_add_f16_e32 v3, v9, v10
	v_mul_f16_e32 v32, -0.5, v31
	v_fma_f16 v26, v7, s3, v26
	v_add_f16_e32 v30, v30, v5
	v_fma_f16 v5, v4, s3, v27
	v_mul_f16_e32 v31, 0xbaee, v31
	v_fma_f16 v4, v4, s2, v27
	v_fma_f16 v7, v7, 0.5, v24
	v_add_f16_e32 v3, v3, v11
	v_fma_f16 v32, v29, s3, v32
	v_sub_f16_e32 v28, v6, v26
	v_sub_f16_e32 v2, v30, v0
	v_fma_f16 v29, v29, -0.5, v31
	v_sub_f16_e32 v24, v4, v7
	v_sub_f16_e32 v9, v1, v3
	v_add_f16_e32 v6, v6, v26
	v_add_f16_e32 v0, v30, v0
	;; [unrolled: 1-line block ×4, first 2 shown]
	v_sub_f16_e32 v33, v8, v32
	v_sub_f16_e32 v31, v5, v29
	v_add_f16_e32 v8, v8, v32
	v_add_f16_e32 v5, v5, v29
	v_pack_b32_f16 v0, v1, v0
	v_pack_b32_f16 v1, v4, v6
	v_add_u32_e32 v3, 0x1000, v68
	ds_write2_b32 v3, v0, v1 offset0:200 offset1:251
	v_pack_b32_f16 v0, v5, v8
	v_pack_b32_f16 v1, v9, v2
	v_add_u32_e32 v2, 0x1400, v68
	ds_write2_b32 v2, v0, v1 offset0:46 offset1:97
	v_pack_b32_f16 v0, v24, v28
	v_pack_b32_f16 v1, v31, v33
	ds_write2_b32 v2, v0, v1 offset0:148 offset1:199
.LBB0_21:
	s_or_b64 exec, exec, s[4:5]
	v_add_u32_e32 v24, 0x200, v57
	s_waitcnt lgkmcnt(0)
	s_barrier
	ds_read2_b32 v[2:3], v24 offset0:76 offset1:178
	v_add_u32_e32 v27, 0x800, v57
	ds_read2_b32 v[4:5], v27 offset0:100 offset1:202
	v_add_u32_e32 v28, 0xc00, v57
	ds_read2_b32 v[6:7], v28 offset0:48 offset1:150
	s_waitcnt lgkmcnt(2)
	v_lshrrev_b32_e32 v30, 16, v3
	v_add_u32_e32 v33, 0x1200, v57
	ds_read2_b32 v[8:9], v33 offset0:72 offset1:174
	v_mul_f16_sdwa v48, v12, v30 dst_sel:DWORD dst_unused:UNUSED_PAD src0_sel:WORD_1 src1_sel:DWORD
	s_waitcnt lgkmcnt(2)
	v_lshrrev_b32_e32 v31, 16, v4
	v_add_u32_e32 v34, 0x400, v57
	v_fma_f16 v48, v12, v3, v48
	v_mul_f16_sdwa v3, v12, v3 dst_sel:DWORD dst_unused:UNUSED_PAD src0_sel:WORD_1 src1_sel:DWORD
	ds_read2_b32 v[10:11], v34 offset0:152 offset1:254
	v_fma_f16 v3, v12, v30, -v3
	v_mul_f16_sdwa v12, v13, v31 dst_sel:DWORD dst_unused:UNUSED_PAD src0_sel:WORD_1 src1_sel:DWORD
	s_waitcnt lgkmcnt(2)
	v_lshrrev_b32_e32 v32, 16, v7
	v_fma_f16 v12, v13, v4, v12
	v_mul_f16_sdwa v4, v13, v4 dst_sel:DWORD dst_unused:UNUSED_PAD src0_sel:WORD_1 src1_sel:DWORD
	v_fma_f16 v4, v13, v31, -v4
	v_mul_f16_sdwa v13, v14, v32 dst_sel:DWORD dst_unused:UNUSED_PAD src0_sel:WORD_1 src1_sel:DWORD
	v_add_u32_e32 v35, 0xe00, v57
	s_waitcnt lgkmcnt(1)
	v_lshrrev_b32_e32 v36, 16, v8
	v_fma_f16 v13, v14, v7, v13
	v_mul_f16_sdwa v7, v14, v7 dst_sel:DWORD dst_unused:UNUSED_PAD src0_sel:WORD_1 src1_sel:DWORD
	ds_read2_b32 v[25:26], v35 offset0:124 offset1:226
	v_fma_f16 v7, v14, v32, -v7
	v_mul_f16_sdwa v14, v15, v36 dst_sel:DWORD dst_unused:UNUSED_PAD src0_sel:WORD_1 src1_sel:DWORD
	s_waitcnt lgkmcnt(1)
	v_lshrrev_b32_e32 v38, 16, v10
	v_fma_f16 v14, v15, v8, v14
	v_mul_f16_sdwa v8, v15, v8 dst_sel:DWORD dst_unused:UNUSED_PAD src0_sel:WORD_1 src1_sel:DWORD
	v_fma_f16 v8, v15, v36, -v8
	v_mul_f16_sdwa v15, v16, v38 dst_sel:DWORD dst_unused:UNUSED_PAD src0_sel:WORD_1 src1_sel:DWORD
	v_lshrrev_b32_e32 v39, 16, v5
	v_fma_f16 v15, v16, v10, v15
	v_mul_f16_sdwa v10, v16, v10 dst_sel:DWORD dst_unused:UNUSED_PAD src0_sel:WORD_1 src1_sel:DWORD
	v_fma_f16 v10, v16, v38, -v10
	v_mul_f16_sdwa v16, v17, v39 dst_sel:DWORD dst_unused:UNUSED_PAD src0_sel:WORD_1 src1_sel:DWORD
	s_waitcnt lgkmcnt(0)
	v_lshrrev_b32_e32 v40, 16, v25
	v_fma_f16 v16, v17, v5, v16
	v_mul_f16_sdwa v5, v17, v5 dst_sel:DWORD dst_unused:UNUSED_PAD src0_sel:WORD_1 src1_sel:DWORD
	v_fma_f16 v5, v17, v39, -v5
	v_mul_f16_sdwa v17, v18, v40 dst_sel:DWORD dst_unused:UNUSED_PAD src0_sel:WORD_1 src1_sel:DWORD
	v_lshrrev_b32_e32 v41, 16, v9
	v_fma_f16 v17, v18, v25, v17
	v_mul_f16_sdwa v25, v18, v25 dst_sel:DWORD dst_unused:UNUSED_PAD src0_sel:WORD_1 src1_sel:DWORD
	v_fma_f16 v18, v18, v40, -v25
	v_mul_f16_sdwa v25, v19, v41 dst_sel:DWORD dst_unused:UNUSED_PAD src0_sel:WORD_1 src1_sel:DWORD
	ds_read2_b32 v[0:1], v57 offset1:102
	v_lshrrev_b32_e32 v44, 16, v11
	v_fma_f16 v25, v19, v9, v25
	v_mul_f16_sdwa v9, v19, v9 dst_sel:DWORD dst_unused:UNUSED_PAD src0_sel:WORD_1 src1_sel:DWORD
	ds_read_b32 v42, v57 offset:5712
	v_fma_f16 v9, v19, v41, -v9
	v_mul_f16_sdwa v19, v20, v44 dst_sel:DWORD dst_unused:UNUSED_PAD src0_sel:WORD_1 src1_sel:DWORD
	v_lshrrev_b32_e32 v45, 16, v6
	v_fma_f16 v19, v20, v11, v19
	v_mul_f16_sdwa v11, v20, v11 dst_sel:DWORD dst_unused:UNUSED_PAD src0_sel:WORD_1 src1_sel:DWORD
	v_fma_f16 v11, v20, v44, -v11
	v_mul_f16_sdwa v20, v21, v45 dst_sel:DWORD dst_unused:UNUSED_PAD src0_sel:WORD_1 src1_sel:DWORD
	v_lshrrev_b32_e32 v46, 16, v26
	v_fma_f16 v20, v21, v6, v20
	v_mul_f16_sdwa v6, v21, v6 dst_sel:DWORD dst_unused:UNUSED_PAD src0_sel:WORD_1 src1_sel:DWORD
	v_add_f16_e32 v31, v12, v13
	v_fma_f16 v6, v21, v45, -v6
	v_mul_f16_sdwa v21, v22, v46 dst_sel:DWORD dst_unused:UNUSED_PAD src0_sel:WORD_1 src1_sel:DWORD
	s_waitcnt lgkmcnt(1)
	v_fma_f16 v31, v31, -0.5, v0
	v_sub_f16_e32 v32, v3, v8
	s_mov_b32 s2, 0xbb9c
	s_movk_i32 s5, 0x3b9c
	s_waitcnt lgkmcnt(0)
	v_lshrrev_b32_e32 v47, 16, v42
	v_fma_f16 v21, v22, v26, v21
	v_mul_f16_sdwa v26, v22, v26 dst_sel:DWORD dst_unused:UNUSED_PAD src0_sel:WORD_1 src1_sel:DWORD
	v_fma_f16 v36, v32, s2, v31
	v_sub_f16_e32 v38, v4, v7
	s_mov_b32 s3, 0xb8b4
	v_sub_f16_e32 v39, v48, v12
	v_sub_f16_e32 v40, v14, v13
	v_fma_f16 v31, v32, s5, v31
	s_movk_i32 s14, 0x38b4
	v_fma_f16 v22, v22, v46, -v26
	v_mul_f16_sdwa v26, v23, v47 dst_sel:DWORD dst_unused:UNUSED_PAD src0_sel:WORD_1 src1_sel:DWORD
	v_mul_f16_sdwa v30, v23, v42 dst_sel:DWORD dst_unused:UNUSED_PAD src0_sel:WORD_1 src1_sel:DWORD
	v_fma_f16 v36, v38, s3, v36
	v_add_f16_e32 v39, v39, v40
	s_movk_i32 s4, 0x34f2
	v_fma_f16 v31, v38, s14, v31
	v_fma_f16 v26, v23, v42, v26
	v_fma_f16 v23, v23, v47, -v30
	v_add_f16_e32 v30, v0, v48
	v_fma_f16 v36, v39, s4, v36
	v_fma_f16 v31, v39, s4, v31
	v_add_f16_e32 v39, v48, v14
	v_lshrrev_b32_e32 v29, 16, v0
	v_add_f16_e32 v30, v30, v12
	v_fma_f16 v0, v39, -0.5, v0
	v_add_f16_e32 v30, v30, v13
	v_fma_f16 v39, v38, s5, v0
	v_sub_f16_e32 v40, v12, v48
	v_sub_f16_e32 v41, v13, v14
	v_fma_f16 v0, v38, s2, v0
	v_add_f16_e32 v38, v4, v7
	v_add_f16_e32 v30, v30, v14
	v_fma_f16 v39, v32, s3, v39
	v_add_f16_e32 v40, v40, v41
	v_fma_f16 v0, v32, s14, v0
	v_fma_f16 v38, v38, -0.5, v29
	v_sub_f16_e32 v14, v48, v14
	v_fma_f16 v39, v40, s4, v39
	v_fma_f16 v0, v40, s4, v0
	;; [unrolled: 1-line block ×3, first 2 shown]
	v_sub_f16_e32 v12, v12, v13
	v_fma_f16 v13, v12, s14, v40
	v_sub_f16_e32 v40, v3, v4
	v_sub_f16_e32 v41, v8, v7
	v_fma_f16 v38, v14, s2, v38
	v_add_f16_e32 v32, v29, v3
	v_add_f16_e32 v40, v40, v41
	v_fma_f16 v38, v12, s3, v38
	v_add_f16_e32 v32, v32, v4
	v_fma_f16 v13, v40, s4, v13
	v_fma_f16 v38, v40, s4, v38
	v_add_f16_e32 v40, v3, v8
	v_add_f16_e32 v32, v32, v7
	v_fma_f16 v29, v40, -0.5, v29
	v_add_f16_e32 v32, v32, v8
	v_fma_f16 v40, v12, s2, v29
	v_sub_f16_e32 v3, v4, v3
	v_sub_f16_e32 v4, v7, v8
	v_add_f16_e32 v8, v16, v17
	v_fma_f16 v40, v14, s14, v40
	v_add_f16_e32 v3, v3, v4
	v_fma_f16 v7, v12, s5, v29
	v_fma_f16 v8, v8, -0.5, v1
	v_sub_f16_e32 v12, v10, v9
	v_fma_f16 v4, v3, s4, v40
	v_fma_f16 v7, v14, s3, v7
	;; [unrolled: 1-line block ×3, first 2 shown]
	v_sub_f16_e32 v29, v5, v18
	v_sub_f16_e32 v40, v15, v16
	;; [unrolled: 1-line block ×3, first 2 shown]
	v_fma_f16 v8, v12, s5, v8
	v_fma_f16 v14, v29, s3, v14
	v_add_f16_e32 v40, v40, v41
	v_fma_f16 v8, v29, s14, v8
	v_fma_f16 v14, v40, s4, v14
	;; [unrolled: 1-line block ×3, first 2 shown]
	v_add_f16_e32 v40, v15, v25
	v_lshrrev_b32_e32 v37, 16, v1
	v_fma_f16 v3, v3, s4, v7
	v_add_f16_e32 v7, v1, v15
	v_fma_f16 v1, v40, -0.5, v1
	v_add_f16_e32 v7, v7, v16
	v_fma_f16 v40, v29, s5, v1
	v_fma_f16 v1, v29, s2, v1
	v_add_f16_e32 v29, v5, v18
	v_add_f16_e32 v7, v7, v17
	v_sub_f16_e32 v41, v16, v15
	v_sub_f16_e32 v42, v17, v25
	v_fma_f16 v29, v29, -0.5, v37
	v_sub_f16_e32 v15, v15, v25
	v_add_f16_e32 v7, v7, v25
	v_fma_f16 v40, v12, s3, v40
	v_add_f16_e32 v41, v41, v42
	v_fma_f16 v1, v12, s14, v1
	v_fma_f16 v25, v15, s5, v29
	v_sub_f16_e32 v16, v16, v17
	v_fma_f16 v40, v41, s4, v40
	v_fma_f16 v1, v41, s4, v1
	;; [unrolled: 1-line block ×3, first 2 shown]
	v_sub_f16_e32 v25, v10, v5
	v_sub_f16_e32 v41, v9, v18
	v_fma_f16 v29, v15, s2, v29
	v_add_f16_e32 v25, v25, v41
	v_fma_f16 v29, v16, s3, v29
	v_add_f16_e32 v12, v37, v10
	v_fma_f16 v17, v25, s4, v17
	v_fma_f16 v25, v25, s4, v29
	v_add_f16_e32 v29, v10, v9
	v_add_f16_e32 v12, v12, v5
	v_fma_f16 v29, v29, -0.5, v37
	v_add_f16_e32 v12, v12, v18
	v_fma_f16 v37, v16, s2, v29
	v_sub_f16_e32 v5, v5, v10
	v_fma_f16 v10, v16, s5, v29
	v_add_f16_e32 v12, v12, v9
	v_fma_f16 v37, v15, s14, v37
	v_sub_f16_e32 v9, v18, v9
	v_fma_f16 v10, v15, s3, v10
	v_add_f16_e32 v15, v20, v21
	v_add_f16_e32 v5, v5, v9
	v_fma_f16 v15, v15, -0.5, v2
	v_sub_f16_e32 v16, v11, v23
	v_fma_f16 v9, v5, s4, v37
	v_fma_f16 v18, v16, s2, v15
	v_sub_f16_e32 v29, v6, v22
	v_sub_f16_e32 v37, v19, v20
	v_sub_f16_e32 v41, v26, v21
	v_fma_f16 v15, v16, s5, v15
	v_fma_f16 v18, v29, s3, v18
	v_add_f16_e32 v37, v37, v41
	v_fma_f16 v15, v29, s14, v15
	v_fma_f16 v18, v37, s4, v18
	;; [unrolled: 1-line block ×3, first 2 shown]
	v_add_f16_e32 v37, v19, v26
	v_lshrrev_b32_e32 v43, 16, v2
	v_fma_f16 v5, v5, s4, v10
	v_add_f16_e32 v10, v2, v19
	v_fma_f16 v2, v37, -0.5, v2
	v_add_f16_e32 v10, v10, v20
	v_fma_f16 v37, v29, s5, v2
	v_fma_f16 v2, v29, s2, v2
	v_add_f16_e32 v29, v6, v22
	v_add_f16_e32 v10, v10, v21
	v_sub_f16_e32 v41, v20, v19
	v_sub_f16_e32 v42, v21, v26
	v_fma_f16 v29, v29, -0.5, v43
	v_sub_f16_e32 v19, v19, v26
	v_add_f16_e32 v10, v10, v26
	v_fma_f16 v37, v16, s3, v37
	v_add_f16_e32 v41, v41, v42
	v_fma_f16 v2, v16, s14, v2
	v_fma_f16 v26, v19, s5, v29
	v_sub_f16_e32 v20, v20, v21
	v_fma_f16 v37, v41, s4, v37
	v_fma_f16 v2, v41, s4, v2
	;; [unrolled: 1-line block ×3, first 2 shown]
	v_sub_f16_e32 v26, v11, v6
	v_sub_f16_e32 v41, v23, v22
	v_fma_f16 v29, v19, s2, v29
	v_add_f16_e32 v26, v26, v41
	v_fma_f16 v29, v20, s3, v29
	v_add_f16_e32 v16, v43, v11
	v_fma_f16 v21, v26, s4, v21
	v_fma_f16 v26, v26, s4, v29
	v_add_f16_e32 v29, v11, v23
	v_add_f16_e32 v16, v16, v6
	v_fma_f16 v29, v29, -0.5, v43
	v_add_f16_e32 v16, v16, v22
	v_fma_f16 v41, v20, s2, v29
	v_sub_f16_e32 v6, v6, v11
	v_sub_f16_e32 v11, v22, v23
	v_fma_f16 v20, v20, s5, v29
	v_pack_b32_f16 v4, v39, v4
	v_pack_b32_f16 v9, v40, v9
	v_add_f16_e32 v16, v16, v23
	v_fma_f16 v41, v19, s14, v41
	v_add_f16_e32 v6, v6, v11
	v_fma_f16 v19, v19, s3, v20
	v_pack_b32_f16 v0, v0, v3
	v_pack_b32_f16 v3, v31, v38
	ds_write2_b32 v27, v4, v9 offset0:100 offset1:202
	v_pack_b32_f16 v4, v8, v25
	v_fma_f16 v11, v6, s4, v41
	v_fma_f16 v6, v6, s4, v19
	v_pack_b32_f16 v19, v30, v32
	v_pack_b32_f16 v13, v36, v13
	;; [unrolled: 1-line block ×3, first 2 shown]
	ds_write2_b32 v33, v3, v4 offset0:72 offset1:174
	v_pack_b32_f16 v3, v10, v16
	ds_write2_b32 v57, v19, v7 offset1:102
	v_pack_b32_f16 v7, v14, v17
	ds_write2_b32 v24, v3, v13 offset0:76 offset1:178
	v_pack_b32_f16 v3, v18, v21
	ds_write2_b32 v34, v7, v3 offset0:152 offset1:254
	v_pack_b32_f16 v3, v37, v11
	v_pack_b32_f16 v1, v1, v5
	ds_write2_b32 v28, v3, v0 offset0:48 offset1:150
	v_pack_b32_f16 v0, v2, v6
	ds_write2_b32 v35, v1, v0 offset0:124 offset1:226
	v_pack_b32_f16 v0, v15, v26
	ds_write_b32 v57, v0 offset:5712
	s_waitcnt lgkmcnt(0)
	s_barrier
	s_and_b64 exec, exec, s[0:1]
	s_cbranch_execz .LBB0_23
; %bb.22:
	global_load_dword v8, v54, s[6:7]
	v_mad_u64_u32 v[0:1], s[0:1], s10, v169, 0
	v_mov_b32_e32 v2, 0x7c00
	v_mad_u64_u32 v[3:4], s[0:1], s8, v55, 0
	v_mad_u64_u32 v[5:6], s[0:1], s11, v169, v[1:2]
	ds_read_b32 v9, v57
	s_mov_b32 s14, 0x156ac015
	v_mad_u64_u32 v[6:7], s[0:1], s9, v55, v[4:5]
	v_mov_b32_e32 v1, v5
	s_waitcnt lgkmcnt(0)
	v_lshrrev_b32_e32 v7, 16, v9
	v_mov_b32_e32 v4, v6
	v_lshlrev_b64 v[0:1], 2, v[0:1]
	s_mov_b32 s15, 0x3f456ac0
	v_mov_b32_e32 v10, s13
	v_lshlrev_b64 v[3:4], 2, v[3:4]
	s_movk_i32 s16, 0x1ff
	s_movk_i32 s10, 0xffe
	;; [unrolled: 1-line block ×3, first 2 shown]
	s_mov_b32 s17, 0x8000
	s_waitcnt vmcnt(0)
	v_mul_f16_sdwa v5, v7, v8 dst_sel:DWORD dst_unused:UNUSED_PAD src0_sel:DWORD src1_sel:WORD_1
	v_fma_f16 v5, v9, v8, v5
	v_mul_f16_sdwa v6, v9, v8 dst_sel:DWORD dst_unused:UNUSED_PAD src0_sel:DWORD src1_sel:WORD_1
	v_cvt_f32_f16_e32 v5, v5
	v_fma_f16 v6, v8, v7, -v6
	v_cvt_f32_f16_e32 v7, v6
	v_add_co_u32_e32 v9, vcc, s12, v0
	v_cvt_f64_f32_e32 v[5:6], v5
	v_cvt_f64_f32_e32 v[7:8], v7
	v_addc_co_u32_e32 v10, vcc, v10, v1, vcc
	v_mul_f64 v[5:6], v[5:6], s[14:15]
	v_mul_f64 v[0:1], v[7:8], s[14:15]
	v_add_co_u32_e32 v3, vcc, v9, v3
	v_addc_co_u32_e32 v4, vcc, v10, v4, vcc
	v_and_or_b32 v5, v6, s16, v5
	v_and_or_b32 v0, v1, s16, v0
	v_cmp_ne_u32_e32 vcc, 0, v5
	v_lshrrev_b32_e32 v7, 8, v6
	v_bfe_u32 v8, v6, 20, 11
	v_cndmask_b32_e64 v5, 0, 1, vcc
	v_cmp_ne_u32_e32 vcc, 0, v0
	v_lshrrev_b32_e32 v9, 8, v1
	v_bfe_u32 v10, v1, 20, 11
	v_sub_u32_e32 v11, 0x3f1, v8
	v_cndmask_b32_e64 v0, 0, 1, vcc
	v_and_or_b32 v5, v7, s10, v5
	v_sub_u32_e32 v12, 0x3f1, v10
	v_med3_i32 v7, v11, 0, 13
	v_and_or_b32 v0, v9, s10, v0
	v_or_b32_e32 v11, 0x1000, v5
	v_add_u32_e32 v8, 0xfffffc10, v8
	v_med3_i32 v9, v12, 0, 13
	v_cmp_ne_u32_e32 vcc, 0, v5
	v_or_b32_e32 v13, 0x1000, v0
	v_lshrrev_b32_e32 v15, v7, v11
	v_add_u32_e32 v10, 0xfffffc10, v10
	v_lshl_or_b32 v12, v8, 12, v5
	v_cndmask_b32_e64 v5, 0, 1, vcc
	v_cmp_ne_u32_e32 vcc, 0, v0
	v_lshrrev_b32_e32 v16, v9, v13
	v_lshlrev_b32_e32 v7, v7, v15
	v_lshl_or_b32 v14, v10, 12, v0
	v_cndmask_b32_e64 v0, 0, 1, vcc
	v_lshlrev_b32_e32 v9, v9, v16
	v_cmp_ne_u32_e32 vcc, v7, v11
	v_cndmask_b32_e64 v7, 0, 1, vcc
	v_cmp_ne_u32_e32 vcc, v9, v13
	v_cndmask_b32_e64 v9, 0, 1, vcc
	v_or_b32_e32 v7, v15, v7
	v_cmp_gt_i32_e32 vcc, 1, v8
	v_cndmask_b32_e32 v7, v12, v7, vcc
	v_or_b32_e32 v9, v16, v9
	v_cmp_gt_i32_e32 vcc, 1, v10
	v_and_b32_e32 v11, 7, v7
	v_cndmask_b32_e32 v9, v14, v9, vcc
	v_cmp_lt_i32_e32 vcc, 5, v11
	v_cmp_eq_u32_e64 s[0:1], 3, v11
	v_lshrrev_b32_e32 v7, 2, v7
	v_and_b32_e32 v12, 7, v9
	s_or_b64 vcc, s[0:1], vcc
	v_cmp_lt_i32_e64 s[2:3], 5, v12
	v_cmp_eq_u32_e64 s[4:5], 3, v12
	v_addc_co_u32_e32 v7, vcc, 0, v7, vcc
	v_lshrrev_b32_e32 v9, 2, v9
	s_or_b64 vcc, s[4:5], s[2:3]
	v_addc_co_u32_e32 v9, vcc, 0, v9, vcc
	v_cmp_gt_i32_e32 vcc, 31, v8
	v_cndmask_b32_e32 v7, v2, v7, vcc
	v_cmp_gt_i32_e32 vcc, 31, v10
	v_lshl_or_b32 v5, v5, 9, v2
	v_cndmask_b32_e32 v9, v2, v9, vcc
	v_cmp_eq_u32_e32 vcc, s18, v8
	v_lshrrev_b32_e32 v6, 16, v6
	v_lshl_or_b32 v0, v0, 9, v2
	v_cndmask_b32_e32 v5, v7, v5, vcc
	v_cmp_eq_u32_e32 vcc, s18, v10
	v_lshrrev_b32_e32 v1, 16, v1
	v_cndmask_b32_e32 v0, v9, v0, vcc
	v_and_or_b32 v5, v6, s17, v5
	v_and_or_b32 v0, v1, s17, v0
	v_and_b32_e32 v1, 0xffff, v5
	v_lshl_or_b32 v0, v0, 16, v1
	global_store_dword v[3:4], v0, off
	global_load_dword v5, v54, s[6:7] offset:360
	ds_read2_b32 v[0:1], v54 offset0:90 offset1:180
	s_mul_i32 s0, s9, 0x168
	s_mul_hi_u32 s9, s8, 0x168
	s_mulk_i32 s8, 0x168
	s_add_i32 s9, s9, s0
	s_waitcnt lgkmcnt(0)
	v_lshrrev_b32_e32 v6, 16, v0
	v_add_co_u32_e32 v3, vcc, s8, v3
	s_waitcnt vmcnt(0)
	v_mul_f16_sdwa v7, v6, v5 dst_sel:DWORD dst_unused:UNUSED_PAD src0_sel:DWORD src1_sel:WORD_1
	v_fma_f16 v7, v0, v5, v7
	v_mul_f16_sdwa v0, v0, v5 dst_sel:DWORD dst_unused:UNUSED_PAD src0_sel:DWORD src1_sel:WORD_1
	v_cvt_f32_f16_e32 v7, v7
	v_fma_f16 v0, v5, v6, -v0
	v_cvt_f32_f16_e32 v0, v0
	v_cvt_f64_f32_e32 v[5:6], v7
	v_cvt_f64_f32_e32 v[7:8], v0
	v_mov_b32_e32 v0, s9
	v_mul_f64 v[5:6], v[5:6], s[14:15]
	v_addc_co_u32_e32 v4, vcc, v4, v0, vcc
	v_mul_f64 v[7:8], v[7:8], s[14:15]
	v_and_or_b32 v0, v6, s16, v5
	v_cmp_ne_u32_e32 vcc, 0, v0
	v_lshrrev_b32_e32 v5, 8, v6
	v_and_or_b32 v7, v8, s16, v7
	v_bfe_u32 v9, v6, 20, 11
	v_cndmask_b32_e64 v0, 0, 1, vcc
	v_cmp_ne_u32_e32 vcc, 0, v7
	v_lshrrev_b32_e32 v10, 8, v8
	v_bfe_u32 v11, v8, 20, 11
	v_sub_u32_e32 v12, 0x3f1, v9
	v_cndmask_b32_e64 v7, 0, 1, vcc
	v_and_or_b32 v0, v5, s10, v0
	v_sub_u32_e32 v13, 0x3f1, v11
	v_med3_i32 v5, v12, 0, 13
	v_and_or_b32 v7, v10, s10, v7
	v_or_b32_e32 v12, 0x1000, v0
	v_add_u32_e32 v9, 0xfffffc10, v9
	v_med3_i32 v10, v13, 0, 13
	v_cmp_ne_u32_e32 vcc, 0, v0
	v_or_b32_e32 v14, 0x1000, v7
	v_lshrrev_b32_e32 v16, v5, v12
	v_add_u32_e32 v11, 0xfffffc10, v11
	v_lshl_or_b32 v13, v9, 12, v0
	v_cndmask_b32_e64 v0, 0, 1, vcc
	v_cmp_ne_u32_e32 vcc, 0, v7
	v_lshrrev_b32_e32 v17, v10, v14
	v_lshlrev_b32_e32 v5, v5, v16
	v_lshl_or_b32 v15, v11, 12, v7
	v_cndmask_b32_e64 v7, 0, 1, vcc
	v_lshlrev_b32_e32 v10, v10, v17
	v_cmp_ne_u32_e32 vcc, v5, v12
	v_cndmask_b32_e64 v5, 0, 1, vcc
	v_cmp_ne_u32_e32 vcc, v10, v14
	v_cndmask_b32_e64 v10, 0, 1, vcc
	v_or_b32_e32 v5, v16, v5
	v_cmp_gt_i32_e32 vcc, 1, v9
	v_cndmask_b32_e32 v5, v13, v5, vcc
	v_or_b32_e32 v10, v17, v10
	v_cmp_gt_i32_e32 vcc, 1, v11
	v_and_b32_e32 v12, 7, v5
	v_cndmask_b32_e32 v10, v15, v10, vcc
	v_cmp_lt_i32_e32 vcc, 5, v12
	v_cmp_eq_u32_e64 s[0:1], 3, v12
	v_lshrrev_b32_e32 v5, 2, v5
	v_and_b32_e32 v13, 7, v10
	s_or_b64 vcc, s[0:1], vcc
	v_cmp_lt_i32_e64 s[2:3], 5, v13
	v_cmp_eq_u32_e64 s[4:5], 3, v13
	v_addc_co_u32_e32 v5, vcc, 0, v5, vcc
	v_lshrrev_b32_e32 v10, 2, v10
	s_or_b64 vcc, s[4:5], s[2:3]
	v_addc_co_u32_e32 v10, vcc, 0, v10, vcc
	v_cmp_gt_i32_e32 vcc, 31, v9
	v_cndmask_b32_e32 v5, v2, v5, vcc
	v_cmp_gt_i32_e32 vcc, 31, v11
	v_lshl_or_b32 v0, v0, 9, v2
	v_cndmask_b32_e32 v10, v2, v10, vcc
	v_cmp_eq_u32_e32 vcc, s18, v9
	v_lshrrev_b32_e32 v6, 16, v6
	v_lshl_or_b32 v7, v7, 9, v2
	v_cndmask_b32_e32 v0, v5, v0, vcc
	v_cmp_eq_u32_e32 vcc, s18, v11
	v_lshrrev_b32_e32 v8, 16, v8
	v_cndmask_b32_e32 v5, v10, v7, vcc
	v_and_or_b32 v0, v6, s17, v0
	v_and_or_b32 v5, v8, s17, v5
	v_and_b32_e32 v0, 0xffff, v0
	v_lshl_or_b32 v0, v5, 16, v0
	global_store_dword v[3:4], v0, off
	global_load_dword v0, v54, s[6:7] offset:720
	v_lshrrev_b32_e32 v5, 16, v1
	v_mov_b32_e32 v7, s9
	v_add_co_u32_e32 v3, vcc, s8, v3
	v_addc_co_u32_e32 v4, vcc, v4, v7, vcc
	s_waitcnt vmcnt(0)
	v_mul_f16_sdwa v6, v5, v0 dst_sel:DWORD dst_unused:UNUSED_PAD src0_sel:DWORD src1_sel:WORD_1
	v_fma_f16 v6, v1, v0, v6
	v_mul_f16_sdwa v1, v1, v0 dst_sel:DWORD dst_unused:UNUSED_PAD src0_sel:DWORD src1_sel:WORD_1
	v_cvt_f32_f16_e32 v6, v6
	v_fma_f16 v0, v0, v5, -v1
	v_cvt_f32_f16_e32 v5, v0
	v_cvt_f64_f32_e32 v[0:1], v6
	v_cvt_f64_f32_e32 v[5:6], v5
	v_mul_f64 v[0:1], v[0:1], s[14:15]
	v_mul_f64 v[5:6], v[5:6], s[14:15]
	v_and_or_b32 v0, v1, s16, v0
	v_cmp_ne_u32_e32 vcc, 0, v0
	v_and_or_b32 v5, v6, s16, v5
	v_lshrrev_b32_e32 v7, 8, v1
	v_bfe_u32 v8, v1, 20, 11
	v_cndmask_b32_e64 v0, 0, 1, vcc
	v_cmp_ne_u32_e32 vcc, 0, v5
	v_lshrrev_b32_e32 v9, 8, v6
	v_bfe_u32 v10, v6, 20, 11
	v_sub_u32_e32 v11, 0x3f1, v8
	v_cndmask_b32_e64 v5, 0, 1, vcc
	v_and_or_b32 v0, v7, s10, v0
	v_sub_u32_e32 v12, 0x3f1, v10
	v_med3_i32 v7, v11, 0, 13
	v_and_or_b32 v5, v9, s10, v5
	v_or_b32_e32 v11, 0x1000, v0
	v_add_u32_e32 v8, 0xfffffc10, v8
	v_med3_i32 v9, v12, 0, 13
	v_cmp_ne_u32_e32 vcc, 0, v0
	v_or_b32_e32 v13, 0x1000, v5
	v_lshrrev_b32_e32 v15, v7, v11
	v_add_u32_e32 v10, 0xfffffc10, v10
	v_lshl_or_b32 v12, v8, 12, v0
	v_cndmask_b32_e64 v0, 0, 1, vcc
	v_cmp_ne_u32_e32 vcc, 0, v5
	v_lshrrev_b32_e32 v16, v9, v13
	v_lshlrev_b32_e32 v7, v7, v15
	v_lshl_or_b32 v14, v10, 12, v5
	v_cndmask_b32_e64 v5, 0, 1, vcc
	v_lshlrev_b32_e32 v9, v9, v16
	v_cmp_ne_u32_e32 vcc, v7, v11
	v_cndmask_b32_e64 v7, 0, 1, vcc
	v_cmp_ne_u32_e32 vcc, v9, v13
	v_cndmask_b32_e64 v9, 0, 1, vcc
	v_or_b32_e32 v7, v15, v7
	v_cmp_gt_i32_e32 vcc, 1, v8
	v_cndmask_b32_e32 v7, v12, v7, vcc
	v_or_b32_e32 v9, v16, v9
	v_cmp_gt_i32_e32 vcc, 1, v10
	v_and_b32_e32 v11, 7, v7
	v_cndmask_b32_e32 v9, v14, v9, vcc
	v_cmp_lt_i32_e32 vcc, 5, v11
	v_cmp_eq_u32_e64 s[0:1], 3, v11
	v_lshrrev_b32_e32 v7, 2, v7
	v_and_b32_e32 v12, 7, v9
	s_or_b64 vcc, s[0:1], vcc
	v_cmp_lt_i32_e64 s[2:3], 5, v12
	v_cmp_eq_u32_e64 s[4:5], 3, v12
	v_addc_co_u32_e32 v7, vcc, 0, v7, vcc
	v_lshrrev_b32_e32 v9, 2, v9
	s_or_b64 vcc, s[4:5], s[2:3]
	v_addc_co_u32_e32 v9, vcc, 0, v9, vcc
	v_cmp_gt_i32_e32 vcc, 31, v8
	v_cndmask_b32_e32 v7, v2, v7, vcc
	v_cmp_gt_i32_e32 vcc, 31, v10
	v_lshl_or_b32 v0, v0, 9, v2
	v_cndmask_b32_e32 v9, v2, v9, vcc
	v_cmp_eq_u32_e32 vcc, s18, v8
	v_lshrrev_b32_e32 v1, 16, v1
	v_lshl_or_b32 v5, v5, 9, v2
	v_cndmask_b32_e32 v0, v7, v0, vcc
	v_cmp_eq_u32_e32 vcc, s18, v10
	v_lshrrev_b32_e32 v6, 16, v6
	v_cndmask_b32_e32 v5, v9, v5, vcc
	v_and_or_b32 v0, v1, s17, v0
	v_and_or_b32 v1, v6, s17, v5
	v_and_b32_e32 v0, 0xffff, v0
	v_lshl_or_b32 v0, v1, 16, v0
	global_store_dword v[3:4], v0, off
	global_load_dword v5, v54, s[6:7] offset:1080
	v_add_u32_e32 v0, 0x400, v54
	ds_read2_b32 v[0:1], v0 offset0:14 offset1:104
	v_add_co_u32_e32 v3, vcc, s8, v3
	s_waitcnt lgkmcnt(0)
	v_lshrrev_b32_e32 v6, 16, v0
	s_waitcnt vmcnt(0)
	v_mul_f16_sdwa v7, v6, v5 dst_sel:DWORD dst_unused:UNUSED_PAD src0_sel:DWORD src1_sel:WORD_1
	v_fma_f16 v7, v0, v5, v7
	v_mul_f16_sdwa v0, v0, v5 dst_sel:DWORD dst_unused:UNUSED_PAD src0_sel:DWORD src1_sel:WORD_1
	v_cvt_f32_f16_e32 v7, v7
	v_fma_f16 v0, v5, v6, -v0
	v_cvt_f32_f16_e32 v0, v0
	v_cvt_f64_f32_e32 v[5:6], v7
	v_cvt_f64_f32_e32 v[7:8], v0
	v_mov_b32_e32 v0, s9
	v_mul_f64 v[5:6], v[5:6], s[14:15]
	v_addc_co_u32_e32 v4, vcc, v4, v0, vcc
	v_mul_f64 v[7:8], v[7:8], s[14:15]
	v_and_or_b32 v0, v6, s16, v5
	v_cmp_ne_u32_e32 vcc, 0, v0
	v_lshrrev_b32_e32 v5, 8, v6
	v_and_or_b32 v7, v8, s16, v7
	v_bfe_u32 v9, v6, 20, 11
	v_cndmask_b32_e64 v0, 0, 1, vcc
	v_cmp_ne_u32_e32 vcc, 0, v7
	v_lshrrev_b32_e32 v10, 8, v8
	v_bfe_u32 v11, v8, 20, 11
	v_sub_u32_e32 v12, 0x3f1, v9
	v_cndmask_b32_e64 v7, 0, 1, vcc
	v_and_or_b32 v0, v5, s10, v0
	v_sub_u32_e32 v13, 0x3f1, v11
	v_med3_i32 v5, v12, 0, 13
	v_and_or_b32 v7, v10, s10, v7
	v_or_b32_e32 v12, 0x1000, v0
	v_add_u32_e32 v9, 0xfffffc10, v9
	v_med3_i32 v10, v13, 0, 13
	v_cmp_ne_u32_e32 vcc, 0, v0
	v_or_b32_e32 v14, 0x1000, v7
	v_lshrrev_b32_e32 v16, v5, v12
	v_add_u32_e32 v11, 0xfffffc10, v11
	v_lshl_or_b32 v13, v9, 12, v0
	v_cndmask_b32_e64 v0, 0, 1, vcc
	v_cmp_ne_u32_e32 vcc, 0, v7
	v_lshrrev_b32_e32 v17, v10, v14
	v_lshlrev_b32_e32 v5, v5, v16
	v_lshl_or_b32 v15, v11, 12, v7
	v_cndmask_b32_e64 v7, 0, 1, vcc
	v_lshlrev_b32_e32 v10, v10, v17
	v_cmp_ne_u32_e32 vcc, v5, v12
	v_cndmask_b32_e64 v5, 0, 1, vcc
	v_cmp_ne_u32_e32 vcc, v10, v14
	v_cndmask_b32_e64 v10, 0, 1, vcc
	v_or_b32_e32 v5, v16, v5
	v_cmp_gt_i32_e32 vcc, 1, v9
	v_cndmask_b32_e32 v5, v13, v5, vcc
	v_or_b32_e32 v10, v17, v10
	v_cmp_gt_i32_e32 vcc, 1, v11
	v_and_b32_e32 v12, 7, v5
	v_cndmask_b32_e32 v10, v15, v10, vcc
	v_cmp_lt_i32_e32 vcc, 5, v12
	v_cmp_eq_u32_e64 s[0:1], 3, v12
	v_lshrrev_b32_e32 v5, 2, v5
	v_and_b32_e32 v13, 7, v10
	s_or_b64 vcc, s[0:1], vcc
	v_cmp_lt_i32_e64 s[2:3], 5, v13
	v_cmp_eq_u32_e64 s[4:5], 3, v13
	v_addc_co_u32_e32 v5, vcc, 0, v5, vcc
	v_lshrrev_b32_e32 v10, 2, v10
	s_or_b64 vcc, s[4:5], s[2:3]
	v_addc_co_u32_e32 v10, vcc, 0, v10, vcc
	v_cmp_gt_i32_e32 vcc, 31, v9
	v_cndmask_b32_e32 v5, v2, v5, vcc
	v_cmp_gt_i32_e32 vcc, 31, v11
	v_lshl_or_b32 v0, v0, 9, v2
	v_cndmask_b32_e32 v10, v2, v10, vcc
	v_cmp_eq_u32_e32 vcc, s18, v9
	v_lshrrev_b32_e32 v6, 16, v6
	v_lshl_or_b32 v7, v7, 9, v2
	v_cndmask_b32_e32 v0, v5, v0, vcc
	v_cmp_eq_u32_e32 vcc, s18, v11
	v_lshrrev_b32_e32 v8, 16, v8
	v_cndmask_b32_e32 v5, v10, v7, vcc
	v_and_or_b32 v0, v6, s17, v0
	v_and_or_b32 v5, v8, s17, v5
	v_and_b32_e32 v0, 0xffff, v0
	v_lshl_or_b32 v0, v5, 16, v0
	global_store_dword v[3:4], v0, off
	global_load_dword v0, v54, s[6:7] offset:1440
	v_lshrrev_b32_e32 v5, 16, v1
	v_mov_b32_e32 v7, s9
	v_add_co_u32_e32 v3, vcc, s8, v3
	v_addc_co_u32_e32 v4, vcc, v4, v7, vcc
	s_waitcnt vmcnt(0)
	v_mul_f16_sdwa v6, v5, v0 dst_sel:DWORD dst_unused:UNUSED_PAD src0_sel:DWORD src1_sel:WORD_1
	v_fma_f16 v6, v1, v0, v6
	v_mul_f16_sdwa v1, v1, v0 dst_sel:DWORD dst_unused:UNUSED_PAD src0_sel:DWORD src1_sel:WORD_1
	v_cvt_f32_f16_e32 v6, v6
	v_fma_f16 v0, v0, v5, -v1
	v_cvt_f32_f16_e32 v5, v0
	v_cvt_f64_f32_e32 v[0:1], v6
	v_cvt_f64_f32_e32 v[5:6], v5
	v_mul_f64 v[0:1], v[0:1], s[14:15]
	v_mul_f64 v[5:6], v[5:6], s[14:15]
	v_and_or_b32 v0, v1, s16, v0
	v_cmp_ne_u32_e32 vcc, 0, v0
	v_and_or_b32 v5, v6, s16, v5
	v_lshrrev_b32_e32 v7, 8, v1
	v_bfe_u32 v8, v1, 20, 11
	v_cndmask_b32_e64 v0, 0, 1, vcc
	v_cmp_ne_u32_e32 vcc, 0, v5
	v_lshrrev_b32_e32 v9, 8, v6
	v_bfe_u32 v10, v6, 20, 11
	v_sub_u32_e32 v11, 0x3f1, v8
	v_cndmask_b32_e64 v5, 0, 1, vcc
	v_and_or_b32 v0, v7, s10, v0
	v_sub_u32_e32 v12, 0x3f1, v10
	v_med3_i32 v7, v11, 0, 13
	v_and_or_b32 v5, v9, s10, v5
	v_or_b32_e32 v11, 0x1000, v0
	v_add_u32_e32 v8, 0xfffffc10, v8
	v_med3_i32 v9, v12, 0, 13
	v_cmp_ne_u32_e32 vcc, 0, v0
	v_or_b32_e32 v13, 0x1000, v5
	v_lshrrev_b32_e32 v15, v7, v11
	v_add_u32_e32 v10, 0xfffffc10, v10
	v_lshl_or_b32 v12, v8, 12, v0
	v_cndmask_b32_e64 v0, 0, 1, vcc
	v_cmp_ne_u32_e32 vcc, 0, v5
	v_lshrrev_b32_e32 v16, v9, v13
	v_lshlrev_b32_e32 v7, v7, v15
	v_lshl_or_b32 v14, v10, 12, v5
	v_cndmask_b32_e64 v5, 0, 1, vcc
	v_lshlrev_b32_e32 v9, v9, v16
	v_cmp_ne_u32_e32 vcc, v7, v11
	v_cndmask_b32_e64 v7, 0, 1, vcc
	v_cmp_ne_u32_e32 vcc, v9, v13
	v_cndmask_b32_e64 v9, 0, 1, vcc
	v_or_b32_e32 v7, v15, v7
	v_cmp_gt_i32_e32 vcc, 1, v8
	v_cndmask_b32_e32 v7, v12, v7, vcc
	v_or_b32_e32 v9, v16, v9
	v_cmp_gt_i32_e32 vcc, 1, v10
	v_and_b32_e32 v11, 7, v7
	v_cndmask_b32_e32 v9, v14, v9, vcc
	v_cmp_lt_i32_e32 vcc, 5, v11
	v_cmp_eq_u32_e64 s[0:1], 3, v11
	v_lshrrev_b32_e32 v7, 2, v7
	v_and_b32_e32 v12, 7, v9
	s_or_b64 vcc, s[0:1], vcc
	v_cmp_lt_i32_e64 s[2:3], 5, v12
	v_cmp_eq_u32_e64 s[4:5], 3, v12
	v_addc_co_u32_e32 v7, vcc, 0, v7, vcc
	v_lshrrev_b32_e32 v9, 2, v9
	s_or_b64 vcc, s[4:5], s[2:3]
	v_addc_co_u32_e32 v9, vcc, 0, v9, vcc
	v_cmp_gt_i32_e32 vcc, 31, v8
	v_cndmask_b32_e32 v7, v2, v7, vcc
	v_cmp_gt_i32_e32 vcc, 31, v10
	v_lshl_or_b32 v0, v0, 9, v2
	v_cndmask_b32_e32 v9, v2, v9, vcc
	v_cmp_eq_u32_e32 vcc, s18, v8
	v_lshrrev_b32_e32 v1, 16, v1
	v_lshl_or_b32 v5, v5, 9, v2
	v_cndmask_b32_e32 v0, v7, v0, vcc
	v_cmp_eq_u32_e32 vcc, s18, v10
	v_lshrrev_b32_e32 v6, 16, v6
	v_cndmask_b32_e32 v5, v9, v5, vcc
	v_and_or_b32 v0, v1, s17, v0
	v_and_or_b32 v1, v6, s17, v5
	v_and_b32_e32 v0, 0xffff, v0
	v_lshl_or_b32 v0, v1, 16, v0
	global_store_dword v[3:4], v0, off
	global_load_dword v5, v54, s[6:7] offset:1800
	v_add_u32_e32 v0, 0x600, v54
	ds_read2_b32 v[0:1], v0 offset0:66 offset1:156
	v_add_co_u32_e32 v3, vcc, s8, v3
	s_waitcnt lgkmcnt(0)
	v_lshrrev_b32_e32 v6, 16, v0
	s_waitcnt vmcnt(0)
	v_mul_f16_sdwa v7, v6, v5 dst_sel:DWORD dst_unused:UNUSED_PAD src0_sel:DWORD src1_sel:WORD_1
	v_fma_f16 v7, v0, v5, v7
	v_mul_f16_sdwa v0, v0, v5 dst_sel:DWORD dst_unused:UNUSED_PAD src0_sel:DWORD src1_sel:WORD_1
	v_cvt_f32_f16_e32 v7, v7
	v_fma_f16 v0, v5, v6, -v0
	v_cvt_f32_f16_e32 v0, v0
	v_cvt_f64_f32_e32 v[5:6], v7
	v_cvt_f64_f32_e32 v[7:8], v0
	v_mov_b32_e32 v0, s9
	v_mul_f64 v[5:6], v[5:6], s[14:15]
	v_addc_co_u32_e32 v4, vcc, v4, v0, vcc
	v_mul_f64 v[7:8], v[7:8], s[14:15]
	v_and_or_b32 v0, v6, s16, v5
	v_cmp_ne_u32_e32 vcc, 0, v0
	v_lshrrev_b32_e32 v5, 8, v6
	v_and_or_b32 v7, v8, s16, v7
	v_bfe_u32 v9, v6, 20, 11
	v_cndmask_b32_e64 v0, 0, 1, vcc
	v_cmp_ne_u32_e32 vcc, 0, v7
	v_lshrrev_b32_e32 v10, 8, v8
	v_bfe_u32 v11, v8, 20, 11
	v_sub_u32_e32 v12, 0x3f1, v9
	v_cndmask_b32_e64 v7, 0, 1, vcc
	v_and_or_b32 v0, v5, s10, v0
	v_sub_u32_e32 v13, 0x3f1, v11
	v_med3_i32 v5, v12, 0, 13
	v_and_or_b32 v7, v10, s10, v7
	v_or_b32_e32 v12, 0x1000, v0
	v_add_u32_e32 v9, 0xfffffc10, v9
	v_med3_i32 v10, v13, 0, 13
	v_cmp_ne_u32_e32 vcc, 0, v0
	v_or_b32_e32 v14, 0x1000, v7
	v_lshrrev_b32_e32 v16, v5, v12
	v_add_u32_e32 v11, 0xfffffc10, v11
	v_lshl_or_b32 v13, v9, 12, v0
	v_cndmask_b32_e64 v0, 0, 1, vcc
	v_cmp_ne_u32_e32 vcc, 0, v7
	v_lshrrev_b32_e32 v17, v10, v14
	v_lshlrev_b32_e32 v5, v5, v16
	v_lshl_or_b32 v15, v11, 12, v7
	v_cndmask_b32_e64 v7, 0, 1, vcc
	v_lshlrev_b32_e32 v10, v10, v17
	v_cmp_ne_u32_e32 vcc, v5, v12
	v_cndmask_b32_e64 v5, 0, 1, vcc
	v_cmp_ne_u32_e32 vcc, v10, v14
	v_cndmask_b32_e64 v10, 0, 1, vcc
	v_or_b32_e32 v5, v16, v5
	v_cmp_gt_i32_e32 vcc, 1, v9
	v_cndmask_b32_e32 v5, v13, v5, vcc
	v_or_b32_e32 v10, v17, v10
	v_cmp_gt_i32_e32 vcc, 1, v11
	v_and_b32_e32 v12, 7, v5
	v_cndmask_b32_e32 v10, v15, v10, vcc
	v_cmp_lt_i32_e32 vcc, 5, v12
	v_cmp_eq_u32_e64 s[0:1], 3, v12
	v_lshrrev_b32_e32 v5, 2, v5
	v_and_b32_e32 v13, 7, v10
	s_or_b64 vcc, s[0:1], vcc
	v_cmp_lt_i32_e64 s[2:3], 5, v13
	v_cmp_eq_u32_e64 s[4:5], 3, v13
	v_addc_co_u32_e32 v5, vcc, 0, v5, vcc
	v_lshrrev_b32_e32 v10, 2, v10
	s_or_b64 vcc, s[4:5], s[2:3]
	v_addc_co_u32_e32 v10, vcc, 0, v10, vcc
	v_cmp_gt_i32_e32 vcc, 31, v9
	v_cndmask_b32_e32 v5, v2, v5, vcc
	v_cmp_gt_i32_e32 vcc, 31, v11
	v_lshl_or_b32 v0, v0, 9, v2
	v_cndmask_b32_e32 v10, v2, v10, vcc
	v_cmp_eq_u32_e32 vcc, s18, v9
	v_lshrrev_b32_e32 v6, 16, v6
	v_lshl_or_b32 v7, v7, 9, v2
	v_cndmask_b32_e32 v0, v5, v0, vcc
	v_cmp_eq_u32_e32 vcc, s18, v11
	v_lshrrev_b32_e32 v8, 16, v8
	v_cndmask_b32_e32 v5, v10, v7, vcc
	v_and_or_b32 v0, v6, s17, v0
	v_and_or_b32 v5, v8, s17, v5
	v_and_b32_e32 v0, 0xffff, v0
	v_lshl_or_b32 v0, v5, 16, v0
	global_store_dword v[3:4], v0, off
	global_load_dword v0, v54, s[6:7] offset:2160
	v_lshrrev_b32_e32 v5, 16, v1
	v_mov_b32_e32 v7, s9
	v_add_co_u32_e32 v3, vcc, s8, v3
	v_addc_co_u32_e32 v4, vcc, v4, v7, vcc
	s_waitcnt vmcnt(0)
	v_mul_f16_sdwa v6, v5, v0 dst_sel:DWORD dst_unused:UNUSED_PAD src0_sel:DWORD src1_sel:WORD_1
	v_fma_f16 v6, v1, v0, v6
	v_mul_f16_sdwa v1, v1, v0 dst_sel:DWORD dst_unused:UNUSED_PAD src0_sel:DWORD src1_sel:WORD_1
	v_cvt_f32_f16_e32 v6, v6
	v_fma_f16 v0, v0, v5, -v1
	v_cvt_f32_f16_e32 v5, v0
	v_cvt_f64_f32_e32 v[0:1], v6
	v_cvt_f64_f32_e32 v[5:6], v5
	v_mul_f64 v[0:1], v[0:1], s[14:15]
	v_mul_f64 v[5:6], v[5:6], s[14:15]
	v_and_or_b32 v0, v1, s16, v0
	v_cmp_ne_u32_e32 vcc, 0, v0
	v_and_or_b32 v5, v6, s16, v5
	v_lshrrev_b32_e32 v7, 8, v1
	v_bfe_u32 v8, v1, 20, 11
	v_cndmask_b32_e64 v0, 0, 1, vcc
	v_cmp_ne_u32_e32 vcc, 0, v5
	v_lshrrev_b32_e32 v9, 8, v6
	v_bfe_u32 v10, v6, 20, 11
	v_sub_u32_e32 v11, 0x3f1, v8
	v_cndmask_b32_e64 v5, 0, 1, vcc
	v_and_or_b32 v0, v7, s10, v0
	v_sub_u32_e32 v12, 0x3f1, v10
	v_med3_i32 v7, v11, 0, 13
	v_and_or_b32 v5, v9, s10, v5
	v_or_b32_e32 v11, 0x1000, v0
	v_add_u32_e32 v8, 0xfffffc10, v8
	v_med3_i32 v9, v12, 0, 13
	v_cmp_ne_u32_e32 vcc, 0, v0
	v_or_b32_e32 v13, 0x1000, v5
	v_lshrrev_b32_e32 v15, v7, v11
	v_add_u32_e32 v10, 0xfffffc10, v10
	v_lshl_or_b32 v12, v8, 12, v0
	v_cndmask_b32_e64 v0, 0, 1, vcc
	v_cmp_ne_u32_e32 vcc, 0, v5
	v_lshrrev_b32_e32 v16, v9, v13
	v_lshlrev_b32_e32 v7, v7, v15
	v_lshl_or_b32 v14, v10, 12, v5
	v_cndmask_b32_e64 v5, 0, 1, vcc
	v_lshlrev_b32_e32 v9, v9, v16
	v_cmp_ne_u32_e32 vcc, v7, v11
	v_cndmask_b32_e64 v7, 0, 1, vcc
	v_cmp_ne_u32_e32 vcc, v9, v13
	v_cndmask_b32_e64 v9, 0, 1, vcc
	v_or_b32_e32 v7, v15, v7
	v_cmp_gt_i32_e32 vcc, 1, v8
	v_cndmask_b32_e32 v7, v12, v7, vcc
	v_or_b32_e32 v9, v16, v9
	v_cmp_gt_i32_e32 vcc, 1, v10
	v_and_b32_e32 v11, 7, v7
	v_cndmask_b32_e32 v9, v14, v9, vcc
	v_cmp_lt_i32_e32 vcc, 5, v11
	v_cmp_eq_u32_e64 s[0:1], 3, v11
	v_lshrrev_b32_e32 v7, 2, v7
	v_and_b32_e32 v12, 7, v9
	s_or_b64 vcc, s[0:1], vcc
	v_cmp_lt_i32_e64 s[2:3], 5, v12
	v_cmp_eq_u32_e64 s[4:5], 3, v12
	v_addc_co_u32_e32 v7, vcc, 0, v7, vcc
	v_lshrrev_b32_e32 v9, 2, v9
	s_or_b64 vcc, s[4:5], s[2:3]
	v_addc_co_u32_e32 v9, vcc, 0, v9, vcc
	v_cmp_gt_i32_e32 vcc, 31, v8
	v_cndmask_b32_e32 v7, v2, v7, vcc
	v_cmp_gt_i32_e32 vcc, 31, v10
	v_lshl_or_b32 v0, v0, 9, v2
	v_cndmask_b32_e32 v9, v2, v9, vcc
	v_cmp_eq_u32_e32 vcc, s18, v8
	v_lshrrev_b32_e32 v1, 16, v1
	v_lshl_or_b32 v5, v5, 9, v2
	v_cndmask_b32_e32 v0, v7, v0, vcc
	v_cmp_eq_u32_e32 vcc, s18, v10
	v_lshrrev_b32_e32 v6, 16, v6
	v_cndmask_b32_e32 v5, v9, v5, vcc
	v_and_or_b32 v0, v1, s17, v0
	v_and_or_b32 v1, v6, s17, v5
	v_and_b32_e32 v0, 0xffff, v0
	v_lshl_or_b32 v0, v1, 16, v0
	global_store_dword v[3:4], v0, off
	global_load_dword v5, v54, s[6:7] offset:2520
	v_add_u32_e32 v0, 0x800, v54
	ds_read2_b32 v[0:1], v0 offset0:118 offset1:208
	v_add_co_u32_e32 v3, vcc, s8, v3
	s_waitcnt lgkmcnt(0)
	v_lshrrev_b32_e32 v6, 16, v0
	s_waitcnt vmcnt(0)
	v_mul_f16_sdwa v7, v6, v5 dst_sel:DWORD dst_unused:UNUSED_PAD src0_sel:DWORD src1_sel:WORD_1
	v_fma_f16 v7, v0, v5, v7
	v_mul_f16_sdwa v0, v0, v5 dst_sel:DWORD dst_unused:UNUSED_PAD src0_sel:DWORD src1_sel:WORD_1
	v_cvt_f32_f16_e32 v7, v7
	v_fma_f16 v0, v5, v6, -v0
	v_cvt_f32_f16_e32 v0, v0
	v_cvt_f64_f32_e32 v[5:6], v7
	v_cvt_f64_f32_e32 v[7:8], v0
	v_mov_b32_e32 v0, s9
	v_mul_f64 v[5:6], v[5:6], s[14:15]
	v_addc_co_u32_e32 v4, vcc, v4, v0, vcc
	v_mul_f64 v[7:8], v[7:8], s[14:15]
	v_and_or_b32 v0, v6, s16, v5
	v_cmp_ne_u32_e32 vcc, 0, v0
	v_lshrrev_b32_e32 v5, 8, v6
	v_and_or_b32 v7, v8, s16, v7
	v_bfe_u32 v9, v6, 20, 11
	v_cndmask_b32_e64 v0, 0, 1, vcc
	v_cmp_ne_u32_e32 vcc, 0, v7
	v_lshrrev_b32_e32 v10, 8, v8
	v_bfe_u32 v11, v8, 20, 11
	v_sub_u32_e32 v12, 0x3f1, v9
	v_cndmask_b32_e64 v7, 0, 1, vcc
	v_and_or_b32 v0, v5, s10, v0
	v_sub_u32_e32 v13, 0x3f1, v11
	v_med3_i32 v5, v12, 0, 13
	v_and_or_b32 v7, v10, s10, v7
	v_or_b32_e32 v12, 0x1000, v0
	v_add_u32_e32 v9, 0xfffffc10, v9
	v_med3_i32 v10, v13, 0, 13
	v_cmp_ne_u32_e32 vcc, 0, v0
	v_or_b32_e32 v14, 0x1000, v7
	v_lshrrev_b32_e32 v16, v5, v12
	v_add_u32_e32 v11, 0xfffffc10, v11
	v_lshl_or_b32 v13, v9, 12, v0
	v_cndmask_b32_e64 v0, 0, 1, vcc
	v_cmp_ne_u32_e32 vcc, 0, v7
	v_lshrrev_b32_e32 v17, v10, v14
	v_lshlrev_b32_e32 v5, v5, v16
	v_lshl_or_b32 v15, v11, 12, v7
	v_cndmask_b32_e64 v7, 0, 1, vcc
	v_lshlrev_b32_e32 v10, v10, v17
	v_cmp_ne_u32_e32 vcc, v5, v12
	v_cndmask_b32_e64 v5, 0, 1, vcc
	v_cmp_ne_u32_e32 vcc, v10, v14
	v_cndmask_b32_e64 v10, 0, 1, vcc
	v_or_b32_e32 v5, v16, v5
	v_cmp_gt_i32_e32 vcc, 1, v9
	v_cndmask_b32_e32 v5, v13, v5, vcc
	v_or_b32_e32 v10, v17, v10
	v_cmp_gt_i32_e32 vcc, 1, v11
	v_and_b32_e32 v12, 7, v5
	v_cndmask_b32_e32 v10, v15, v10, vcc
	v_cmp_lt_i32_e32 vcc, 5, v12
	v_cmp_eq_u32_e64 s[0:1], 3, v12
	v_lshrrev_b32_e32 v5, 2, v5
	v_and_b32_e32 v13, 7, v10
	s_or_b64 vcc, s[0:1], vcc
	v_cmp_lt_i32_e64 s[2:3], 5, v13
	v_cmp_eq_u32_e64 s[4:5], 3, v13
	v_addc_co_u32_e32 v5, vcc, 0, v5, vcc
	v_lshrrev_b32_e32 v10, 2, v10
	s_or_b64 vcc, s[4:5], s[2:3]
	v_addc_co_u32_e32 v10, vcc, 0, v10, vcc
	v_cmp_gt_i32_e32 vcc, 31, v9
	v_cndmask_b32_e32 v5, v2, v5, vcc
	v_cmp_gt_i32_e32 vcc, 31, v11
	v_lshl_or_b32 v0, v0, 9, v2
	v_cndmask_b32_e32 v10, v2, v10, vcc
	v_cmp_eq_u32_e32 vcc, s18, v9
	v_lshrrev_b32_e32 v6, 16, v6
	v_lshl_or_b32 v7, v7, 9, v2
	v_cndmask_b32_e32 v0, v5, v0, vcc
	v_cmp_eq_u32_e32 vcc, s18, v11
	v_lshrrev_b32_e32 v8, 16, v8
	v_cndmask_b32_e32 v5, v10, v7, vcc
	v_and_or_b32 v0, v6, s17, v0
	v_and_or_b32 v5, v8, s17, v5
	v_and_b32_e32 v0, 0xffff, v0
	v_lshl_or_b32 v0, v5, 16, v0
	global_store_dword v[3:4], v0, off
	global_load_dword v0, v54, s[6:7] offset:2880
	v_lshrrev_b32_e32 v5, 16, v1
	v_mov_b32_e32 v7, s9
	v_add_co_u32_e32 v3, vcc, s8, v3
	v_addc_co_u32_e32 v4, vcc, v4, v7, vcc
	s_waitcnt vmcnt(0)
	v_mul_f16_sdwa v6, v5, v0 dst_sel:DWORD dst_unused:UNUSED_PAD src0_sel:DWORD src1_sel:WORD_1
	v_fma_f16 v6, v1, v0, v6
	v_mul_f16_sdwa v1, v1, v0 dst_sel:DWORD dst_unused:UNUSED_PAD src0_sel:DWORD src1_sel:WORD_1
	v_cvt_f32_f16_e32 v6, v6
	v_fma_f16 v0, v0, v5, -v1
	v_cvt_f32_f16_e32 v5, v0
	v_cvt_f64_f32_e32 v[0:1], v6
	v_cvt_f64_f32_e32 v[5:6], v5
	v_mul_f64 v[0:1], v[0:1], s[14:15]
	v_mul_f64 v[5:6], v[5:6], s[14:15]
	v_and_or_b32 v0, v1, s16, v0
	v_cmp_ne_u32_e32 vcc, 0, v0
	v_and_or_b32 v5, v6, s16, v5
	v_lshrrev_b32_e32 v7, 8, v1
	v_bfe_u32 v8, v1, 20, 11
	v_cndmask_b32_e64 v0, 0, 1, vcc
	v_cmp_ne_u32_e32 vcc, 0, v5
	v_lshrrev_b32_e32 v9, 8, v6
	v_bfe_u32 v10, v6, 20, 11
	v_sub_u32_e32 v11, 0x3f1, v8
	v_cndmask_b32_e64 v5, 0, 1, vcc
	v_and_or_b32 v0, v7, s10, v0
	v_sub_u32_e32 v12, 0x3f1, v10
	v_med3_i32 v7, v11, 0, 13
	v_and_or_b32 v5, v9, s10, v5
	v_or_b32_e32 v11, 0x1000, v0
	v_add_u32_e32 v8, 0xfffffc10, v8
	v_med3_i32 v9, v12, 0, 13
	v_cmp_ne_u32_e32 vcc, 0, v0
	v_or_b32_e32 v13, 0x1000, v5
	v_lshrrev_b32_e32 v15, v7, v11
	v_add_u32_e32 v10, 0xfffffc10, v10
	v_lshl_or_b32 v12, v8, 12, v0
	v_cndmask_b32_e64 v0, 0, 1, vcc
	v_cmp_ne_u32_e32 vcc, 0, v5
	v_lshrrev_b32_e32 v16, v9, v13
	v_lshlrev_b32_e32 v7, v7, v15
	v_lshl_or_b32 v14, v10, 12, v5
	v_cndmask_b32_e64 v5, 0, 1, vcc
	v_lshlrev_b32_e32 v9, v9, v16
	v_cmp_ne_u32_e32 vcc, v7, v11
	v_cndmask_b32_e64 v7, 0, 1, vcc
	v_cmp_ne_u32_e32 vcc, v9, v13
	v_cndmask_b32_e64 v9, 0, 1, vcc
	v_or_b32_e32 v7, v15, v7
	v_cmp_gt_i32_e32 vcc, 1, v8
	v_cndmask_b32_e32 v7, v12, v7, vcc
	v_or_b32_e32 v9, v16, v9
	v_cmp_gt_i32_e32 vcc, 1, v10
	v_and_b32_e32 v11, 7, v7
	v_cndmask_b32_e32 v9, v14, v9, vcc
	v_cmp_lt_i32_e32 vcc, 5, v11
	v_cmp_eq_u32_e64 s[0:1], 3, v11
	v_lshrrev_b32_e32 v7, 2, v7
	v_and_b32_e32 v12, 7, v9
	s_or_b64 vcc, s[0:1], vcc
	v_cmp_lt_i32_e64 s[2:3], 5, v12
	v_cmp_eq_u32_e64 s[4:5], 3, v12
	v_addc_co_u32_e32 v7, vcc, 0, v7, vcc
	v_lshrrev_b32_e32 v9, 2, v9
	s_or_b64 vcc, s[4:5], s[2:3]
	v_addc_co_u32_e32 v9, vcc, 0, v9, vcc
	v_cmp_gt_i32_e32 vcc, 31, v8
	v_cndmask_b32_e32 v7, v2, v7, vcc
	v_cmp_gt_i32_e32 vcc, 31, v10
	v_lshl_or_b32 v0, v0, 9, v2
	v_cndmask_b32_e32 v9, v2, v9, vcc
	v_cmp_eq_u32_e32 vcc, s18, v8
	v_lshrrev_b32_e32 v1, 16, v1
	v_lshl_or_b32 v5, v5, 9, v2
	v_cndmask_b32_e32 v0, v7, v0, vcc
	v_cmp_eq_u32_e32 vcc, s18, v10
	v_lshrrev_b32_e32 v6, 16, v6
	v_cndmask_b32_e32 v5, v9, v5, vcc
	v_and_or_b32 v0, v1, s17, v0
	v_and_or_b32 v1, v6, s17, v5
	v_and_b32_e32 v0, 0xffff, v0
	v_lshl_or_b32 v0, v1, 16, v0
	global_store_dword v[3:4], v0, off
	global_load_dword v5, v54, s[6:7] offset:3240
	v_add_u32_e32 v0, 0xc00, v54
	ds_read2_b32 v[0:1], v0 offset0:42 offset1:132
	v_add_co_u32_e32 v3, vcc, s8, v3
	s_waitcnt lgkmcnt(0)
	v_lshrrev_b32_e32 v6, 16, v0
	s_waitcnt vmcnt(0)
	v_mul_f16_sdwa v7, v6, v5 dst_sel:DWORD dst_unused:UNUSED_PAD src0_sel:DWORD src1_sel:WORD_1
	v_fma_f16 v7, v0, v5, v7
	v_mul_f16_sdwa v0, v0, v5 dst_sel:DWORD dst_unused:UNUSED_PAD src0_sel:DWORD src1_sel:WORD_1
	v_cvt_f32_f16_e32 v7, v7
	v_fma_f16 v0, v5, v6, -v0
	v_cvt_f32_f16_e32 v0, v0
	v_cvt_f64_f32_e32 v[5:6], v7
	v_cvt_f64_f32_e32 v[7:8], v0
	v_mov_b32_e32 v0, s9
	v_mul_f64 v[5:6], v[5:6], s[14:15]
	v_addc_co_u32_e32 v4, vcc, v4, v0, vcc
	v_mul_f64 v[7:8], v[7:8], s[14:15]
	v_and_or_b32 v0, v6, s16, v5
	v_cmp_ne_u32_e32 vcc, 0, v0
	v_lshrrev_b32_e32 v5, 8, v6
	v_and_or_b32 v7, v8, s16, v7
	v_bfe_u32 v9, v6, 20, 11
	v_cndmask_b32_e64 v0, 0, 1, vcc
	v_cmp_ne_u32_e32 vcc, 0, v7
	v_lshrrev_b32_e32 v10, 8, v8
	v_bfe_u32 v11, v8, 20, 11
	v_sub_u32_e32 v12, 0x3f1, v9
	v_cndmask_b32_e64 v7, 0, 1, vcc
	v_and_or_b32 v0, v5, s10, v0
	v_sub_u32_e32 v13, 0x3f1, v11
	v_med3_i32 v5, v12, 0, 13
	v_and_or_b32 v7, v10, s10, v7
	v_or_b32_e32 v12, 0x1000, v0
	v_add_u32_e32 v9, 0xfffffc10, v9
	v_med3_i32 v10, v13, 0, 13
	v_cmp_ne_u32_e32 vcc, 0, v0
	v_or_b32_e32 v14, 0x1000, v7
	v_lshrrev_b32_e32 v16, v5, v12
	v_add_u32_e32 v11, 0xfffffc10, v11
	v_lshl_or_b32 v13, v9, 12, v0
	v_cndmask_b32_e64 v0, 0, 1, vcc
	v_cmp_ne_u32_e32 vcc, 0, v7
	v_lshrrev_b32_e32 v17, v10, v14
	v_lshlrev_b32_e32 v5, v5, v16
	v_lshl_or_b32 v15, v11, 12, v7
	v_cndmask_b32_e64 v7, 0, 1, vcc
	v_lshlrev_b32_e32 v10, v10, v17
	v_cmp_ne_u32_e32 vcc, v5, v12
	v_cndmask_b32_e64 v5, 0, 1, vcc
	v_cmp_ne_u32_e32 vcc, v10, v14
	v_cndmask_b32_e64 v10, 0, 1, vcc
	v_or_b32_e32 v5, v16, v5
	v_cmp_gt_i32_e32 vcc, 1, v9
	v_cndmask_b32_e32 v5, v13, v5, vcc
	v_or_b32_e32 v10, v17, v10
	v_cmp_gt_i32_e32 vcc, 1, v11
	v_and_b32_e32 v12, 7, v5
	v_cndmask_b32_e32 v10, v15, v10, vcc
	v_cmp_lt_i32_e32 vcc, 5, v12
	v_cmp_eq_u32_e64 s[0:1], 3, v12
	v_lshrrev_b32_e32 v5, 2, v5
	v_and_b32_e32 v13, 7, v10
	s_or_b64 vcc, s[0:1], vcc
	v_cmp_lt_i32_e64 s[2:3], 5, v13
	v_cmp_eq_u32_e64 s[4:5], 3, v13
	v_addc_co_u32_e32 v5, vcc, 0, v5, vcc
	v_lshrrev_b32_e32 v10, 2, v10
	s_or_b64 vcc, s[4:5], s[2:3]
	v_addc_co_u32_e32 v10, vcc, 0, v10, vcc
	v_cmp_gt_i32_e32 vcc, 31, v9
	v_cndmask_b32_e32 v5, v2, v5, vcc
	v_cmp_gt_i32_e32 vcc, 31, v11
	v_lshl_or_b32 v0, v0, 9, v2
	v_cndmask_b32_e32 v10, v2, v10, vcc
	v_cmp_eq_u32_e32 vcc, s18, v9
	v_lshrrev_b32_e32 v6, 16, v6
	v_lshl_or_b32 v7, v7, 9, v2
	v_cndmask_b32_e32 v0, v5, v0, vcc
	v_cmp_eq_u32_e32 vcc, s18, v11
	v_lshrrev_b32_e32 v8, 16, v8
	v_cndmask_b32_e32 v5, v10, v7, vcc
	v_and_or_b32 v0, v6, s17, v0
	v_and_or_b32 v5, v8, s17, v5
	v_and_b32_e32 v0, 0xffff, v0
	v_lshl_or_b32 v0, v5, 16, v0
	global_store_dword v[3:4], v0, off
	global_load_dword v0, v54, s[6:7] offset:3600
	v_lshrrev_b32_e32 v5, 16, v1
	v_mov_b32_e32 v7, s9
	v_add_co_u32_e32 v3, vcc, s8, v3
	v_addc_co_u32_e32 v4, vcc, v4, v7, vcc
	s_waitcnt vmcnt(0)
	v_mul_f16_sdwa v6, v5, v0 dst_sel:DWORD dst_unused:UNUSED_PAD src0_sel:DWORD src1_sel:WORD_1
	v_fma_f16 v6, v1, v0, v6
	v_mul_f16_sdwa v1, v1, v0 dst_sel:DWORD dst_unused:UNUSED_PAD src0_sel:DWORD src1_sel:WORD_1
	v_cvt_f32_f16_e32 v6, v6
	v_fma_f16 v0, v0, v5, -v1
	v_cvt_f32_f16_e32 v5, v0
	v_cvt_f64_f32_e32 v[0:1], v6
	v_cvt_f64_f32_e32 v[5:6], v5
	v_mul_f64 v[0:1], v[0:1], s[14:15]
	v_mul_f64 v[5:6], v[5:6], s[14:15]
	v_and_or_b32 v0, v1, s16, v0
	v_cmp_ne_u32_e32 vcc, 0, v0
	v_and_or_b32 v5, v6, s16, v5
	v_lshrrev_b32_e32 v7, 8, v1
	v_bfe_u32 v8, v1, 20, 11
	v_cndmask_b32_e64 v0, 0, 1, vcc
	v_cmp_ne_u32_e32 vcc, 0, v5
	v_lshrrev_b32_e32 v9, 8, v6
	v_bfe_u32 v10, v6, 20, 11
	v_sub_u32_e32 v11, 0x3f1, v8
	v_cndmask_b32_e64 v5, 0, 1, vcc
	v_and_or_b32 v0, v7, s10, v0
	v_sub_u32_e32 v12, 0x3f1, v10
	v_med3_i32 v7, v11, 0, 13
	v_and_or_b32 v5, v9, s10, v5
	v_or_b32_e32 v11, 0x1000, v0
	v_add_u32_e32 v8, 0xfffffc10, v8
	v_med3_i32 v9, v12, 0, 13
	v_cmp_ne_u32_e32 vcc, 0, v0
	v_or_b32_e32 v13, 0x1000, v5
	v_lshrrev_b32_e32 v15, v7, v11
	v_add_u32_e32 v10, 0xfffffc10, v10
	v_lshl_or_b32 v12, v8, 12, v0
	v_cndmask_b32_e64 v0, 0, 1, vcc
	v_cmp_ne_u32_e32 vcc, 0, v5
	v_lshrrev_b32_e32 v16, v9, v13
	v_lshlrev_b32_e32 v7, v7, v15
	v_lshl_or_b32 v14, v10, 12, v5
	v_cndmask_b32_e64 v5, 0, 1, vcc
	v_lshlrev_b32_e32 v9, v9, v16
	v_cmp_ne_u32_e32 vcc, v7, v11
	v_cndmask_b32_e64 v7, 0, 1, vcc
	v_cmp_ne_u32_e32 vcc, v9, v13
	v_cndmask_b32_e64 v9, 0, 1, vcc
	v_or_b32_e32 v7, v15, v7
	v_cmp_gt_i32_e32 vcc, 1, v8
	v_cndmask_b32_e32 v7, v12, v7, vcc
	v_or_b32_e32 v9, v16, v9
	v_cmp_gt_i32_e32 vcc, 1, v10
	v_and_b32_e32 v11, 7, v7
	v_cndmask_b32_e32 v9, v14, v9, vcc
	v_cmp_lt_i32_e32 vcc, 5, v11
	v_cmp_eq_u32_e64 s[0:1], 3, v11
	v_lshrrev_b32_e32 v7, 2, v7
	v_and_b32_e32 v12, 7, v9
	s_or_b64 vcc, s[0:1], vcc
	v_cmp_lt_i32_e64 s[2:3], 5, v12
	v_cmp_eq_u32_e64 s[4:5], 3, v12
	v_addc_co_u32_e32 v7, vcc, 0, v7, vcc
	v_lshrrev_b32_e32 v9, 2, v9
	s_or_b64 vcc, s[4:5], s[2:3]
	v_addc_co_u32_e32 v9, vcc, 0, v9, vcc
	v_cmp_gt_i32_e32 vcc, 31, v8
	v_cndmask_b32_e32 v7, v2, v7, vcc
	v_cmp_gt_i32_e32 vcc, 31, v10
	v_lshl_or_b32 v0, v0, 9, v2
	v_cndmask_b32_e32 v9, v2, v9, vcc
	v_cmp_eq_u32_e32 vcc, s18, v8
	v_lshrrev_b32_e32 v1, 16, v1
	v_lshl_or_b32 v5, v5, 9, v2
	v_cndmask_b32_e32 v0, v7, v0, vcc
	v_cmp_eq_u32_e32 vcc, s18, v10
	v_lshrrev_b32_e32 v6, 16, v6
	v_cndmask_b32_e32 v5, v9, v5, vcc
	v_and_or_b32 v0, v1, s17, v0
	v_and_or_b32 v1, v6, s17, v5
	v_and_b32_e32 v0, 0xffff, v0
	v_lshl_or_b32 v0, v1, 16, v0
	global_store_dword v[3:4], v0, off
	global_load_dword v0, v54, s[6:7] offset:3960
	v_add_u32_e32 v1, 0xe00, v54
	ds_read2_b32 v[5:6], v1 offset0:94 offset1:184
	v_mov_b32_e32 v7, s7
	v_add_co_u32_e32 v11, vcc, s6, v54
	v_addc_co_u32_e32 v12, vcc, 0, v7, vcc
	s_waitcnt lgkmcnt(0)
	v_lshrrev_b32_e32 v1, 16, v5
	s_movk_i32 s0, 0x1000
	v_mov_b32_e32 v13, s9
	s_waitcnt vmcnt(0)
	v_mul_f16_sdwa v8, v1, v0 dst_sel:DWORD dst_unused:UNUSED_PAD src0_sel:DWORD src1_sel:WORD_1
	v_fma_f16 v8, v5, v0, v8
	v_mul_f16_sdwa v5, v5, v0 dst_sel:DWORD dst_unused:UNUSED_PAD src0_sel:DWORD src1_sel:WORD_1
	v_cvt_f32_f16_e32 v8, v8
	v_fma_f16 v0, v0, v1, -v5
	v_cvt_f32_f16_e32 v5, v0
	v_cvt_f64_f32_e32 v[0:1], v8
	v_cvt_f64_f32_e32 v[7:8], v5
	v_mul_f64 v[9:10], v[0:1], s[14:15]
	v_add_co_u32_e32 v0, vcc, s0, v11
	v_mul_f64 v[7:8], v[7:8], s[14:15]
	v_addc_co_u32_e32 v1, vcc, 0, v12, vcc
	v_add_co_u32_e32 v3, vcc, s8, v3
	v_addc_co_u32_e32 v4, vcc, v4, v13, vcc
	v_and_or_b32 v5, v10, s16, v9
	v_and_or_b32 v7, v8, s16, v7
	v_cmp_ne_u32_e32 vcc, 0, v5
	v_lshrrev_b32_e32 v9, 8, v10
	v_bfe_u32 v11, v10, 20, 11
	v_cndmask_b32_e64 v5, 0, 1, vcc
	v_cmp_ne_u32_e32 vcc, 0, v7
	v_lshrrev_b32_e32 v12, 8, v8
	v_bfe_u32 v13, v8, 20, 11
	v_sub_u32_e32 v14, 0x3f1, v11
	v_cndmask_b32_e64 v7, 0, 1, vcc
	v_and_or_b32 v5, v9, s10, v5
	v_sub_u32_e32 v15, 0x3f1, v13
	v_med3_i32 v9, v14, 0, 13
	v_and_or_b32 v7, v12, s10, v7
	v_or_b32_e32 v14, 0x1000, v5
	v_add_u32_e32 v11, 0xfffffc10, v11
	v_med3_i32 v12, v15, 0, 13
	v_cmp_ne_u32_e32 vcc, 0, v5
	v_or_b32_e32 v16, 0x1000, v7
	v_lshrrev_b32_e32 v18, v9, v14
	v_add_u32_e32 v13, 0xfffffc10, v13
	v_lshl_or_b32 v15, v11, 12, v5
	v_cndmask_b32_e64 v5, 0, 1, vcc
	v_cmp_ne_u32_e32 vcc, 0, v7
	v_lshrrev_b32_e32 v19, v12, v16
	v_lshlrev_b32_e32 v9, v9, v18
	v_lshl_or_b32 v17, v13, 12, v7
	v_cndmask_b32_e64 v7, 0, 1, vcc
	v_lshlrev_b32_e32 v12, v12, v19
	v_cmp_ne_u32_e32 vcc, v9, v14
	v_cndmask_b32_e64 v9, 0, 1, vcc
	v_cmp_ne_u32_e32 vcc, v12, v16
	v_cndmask_b32_e64 v12, 0, 1, vcc
	v_or_b32_e32 v9, v18, v9
	v_cmp_gt_i32_e32 vcc, 1, v11
	v_cndmask_b32_e32 v9, v15, v9, vcc
	v_or_b32_e32 v12, v19, v12
	v_cmp_gt_i32_e32 vcc, 1, v13
	v_and_b32_e32 v14, 7, v9
	v_cndmask_b32_e32 v12, v17, v12, vcc
	v_cmp_lt_i32_e32 vcc, 5, v14
	v_cmp_eq_u32_e64 s[0:1], 3, v14
	v_lshrrev_b32_e32 v9, 2, v9
	v_and_b32_e32 v15, 7, v12
	s_or_b64 vcc, s[0:1], vcc
	v_cmp_lt_i32_e64 s[2:3], 5, v15
	v_cmp_eq_u32_e64 s[4:5], 3, v15
	v_addc_co_u32_e32 v9, vcc, 0, v9, vcc
	v_lshrrev_b32_e32 v12, 2, v12
	s_or_b64 vcc, s[4:5], s[2:3]
	v_addc_co_u32_e32 v12, vcc, 0, v12, vcc
	v_cmp_gt_i32_e32 vcc, 31, v11
	v_cndmask_b32_e32 v9, v2, v9, vcc
	v_cmp_gt_i32_e32 vcc, 31, v13
	v_lshl_or_b32 v5, v5, 9, v2
	v_cndmask_b32_e32 v12, v2, v12, vcc
	v_cmp_eq_u32_e32 vcc, s18, v11
	v_lshrrev_b32_e32 v10, 16, v10
	v_lshl_or_b32 v7, v7, 9, v2
	v_cndmask_b32_e32 v5, v9, v5, vcc
	v_cmp_eq_u32_e32 vcc, s18, v13
	v_lshrrev_b32_e32 v8, 16, v8
	v_cndmask_b32_e32 v7, v12, v7, vcc
	v_and_or_b32 v5, v10, s17, v5
	v_and_or_b32 v7, v8, s17, v7
	v_and_b32_e32 v5, 0xffff, v5
	v_lshl_or_b32 v5, v7, 16, v5
	global_store_dword v[3:4], v5, off
	global_load_dword v5, v[0:1], off offset:224
	v_lshrrev_b32_e32 v7, 16, v6
	v_mov_b32_e32 v9, s9
	v_add_co_u32_e32 v3, vcc, s8, v3
	v_addc_co_u32_e32 v4, vcc, v4, v9, vcc
	s_waitcnt vmcnt(0)
	v_mul_f16_sdwa v8, v7, v5 dst_sel:DWORD dst_unused:UNUSED_PAD src0_sel:DWORD src1_sel:WORD_1
	v_fma_f16 v8, v6, v5, v8
	v_mul_f16_sdwa v6, v6, v5 dst_sel:DWORD dst_unused:UNUSED_PAD src0_sel:DWORD src1_sel:WORD_1
	v_cvt_f32_f16_e32 v8, v8
	v_fma_f16 v5, v5, v7, -v6
	v_cvt_f32_f16_e32 v7, v5
	v_cvt_f64_f32_e32 v[5:6], v8
	v_cvt_f64_f32_e32 v[7:8], v7
	v_mul_f64 v[5:6], v[5:6], s[14:15]
	v_mul_f64 v[7:8], v[7:8], s[14:15]
	v_and_or_b32 v5, v6, s16, v5
	v_cmp_ne_u32_e32 vcc, 0, v5
	v_and_or_b32 v7, v8, s16, v7
	v_lshrrev_b32_e32 v9, 8, v6
	v_bfe_u32 v10, v6, 20, 11
	v_cndmask_b32_e64 v5, 0, 1, vcc
	v_cmp_ne_u32_e32 vcc, 0, v7
	v_lshrrev_b32_e32 v11, 8, v8
	v_bfe_u32 v12, v8, 20, 11
	v_sub_u32_e32 v13, 0x3f1, v10
	v_cndmask_b32_e64 v7, 0, 1, vcc
	v_and_or_b32 v5, v9, s10, v5
	v_sub_u32_e32 v14, 0x3f1, v12
	v_med3_i32 v9, v13, 0, 13
	v_and_or_b32 v7, v11, s10, v7
	v_or_b32_e32 v13, 0x1000, v5
	v_add_u32_e32 v10, 0xfffffc10, v10
	v_med3_i32 v11, v14, 0, 13
	v_cmp_ne_u32_e32 vcc, 0, v5
	v_or_b32_e32 v15, 0x1000, v7
	v_lshrrev_b32_e32 v17, v9, v13
	v_add_u32_e32 v12, 0xfffffc10, v12
	v_lshl_or_b32 v14, v10, 12, v5
	v_cndmask_b32_e64 v5, 0, 1, vcc
	v_cmp_ne_u32_e32 vcc, 0, v7
	v_lshrrev_b32_e32 v18, v11, v15
	v_lshlrev_b32_e32 v9, v9, v17
	v_lshl_or_b32 v16, v12, 12, v7
	v_cndmask_b32_e64 v7, 0, 1, vcc
	v_lshlrev_b32_e32 v11, v11, v18
	v_cmp_ne_u32_e32 vcc, v9, v13
	v_cndmask_b32_e64 v9, 0, 1, vcc
	v_cmp_ne_u32_e32 vcc, v11, v15
	v_cndmask_b32_e64 v11, 0, 1, vcc
	v_or_b32_e32 v9, v17, v9
	v_cmp_gt_i32_e32 vcc, 1, v10
	v_cndmask_b32_e32 v9, v14, v9, vcc
	v_or_b32_e32 v11, v18, v11
	v_cmp_gt_i32_e32 vcc, 1, v12
	v_and_b32_e32 v13, 7, v9
	v_cndmask_b32_e32 v11, v16, v11, vcc
	v_cmp_lt_i32_e32 vcc, 5, v13
	v_cmp_eq_u32_e64 s[0:1], 3, v13
	v_lshrrev_b32_e32 v9, 2, v9
	v_and_b32_e32 v14, 7, v11
	s_or_b64 vcc, s[0:1], vcc
	v_cmp_lt_i32_e64 s[2:3], 5, v14
	v_cmp_eq_u32_e64 s[4:5], 3, v14
	v_addc_co_u32_e32 v9, vcc, 0, v9, vcc
	v_lshrrev_b32_e32 v11, 2, v11
	s_or_b64 vcc, s[4:5], s[2:3]
	v_addc_co_u32_e32 v11, vcc, 0, v11, vcc
	v_cmp_gt_i32_e32 vcc, 31, v10
	v_cndmask_b32_e32 v9, v2, v9, vcc
	v_cmp_gt_i32_e32 vcc, 31, v12
	v_lshl_or_b32 v5, v5, 9, v2
	v_cndmask_b32_e32 v11, v2, v11, vcc
	v_cmp_eq_u32_e32 vcc, s18, v10
	v_lshrrev_b32_e32 v6, 16, v6
	v_lshl_or_b32 v7, v7, 9, v2
	v_cndmask_b32_e32 v5, v9, v5, vcc
	v_cmp_eq_u32_e32 vcc, s18, v12
	v_lshrrev_b32_e32 v8, 16, v8
	v_cndmask_b32_e32 v7, v11, v7, vcc
	v_and_or_b32 v5, v6, s17, v5
	v_and_or_b32 v6, v8, s17, v7
	v_and_b32_e32 v5, 0xffff, v5
	v_lshl_or_b32 v5, v6, 16, v5
	global_store_dword v[3:4], v5, off
	global_load_dword v7, v[0:1], off offset:584
	v_add_u32_e32 v5, 0x1000, v54
	ds_read2_b32 v[5:6], v5 offset0:146 offset1:236
	v_add_co_u32_e32 v3, vcc, s8, v3
	s_waitcnt lgkmcnt(0)
	v_lshrrev_b32_e32 v8, 16, v5
	s_waitcnt vmcnt(0)
	v_mul_f16_sdwa v9, v8, v7 dst_sel:DWORD dst_unused:UNUSED_PAD src0_sel:DWORD src1_sel:WORD_1
	v_fma_f16 v9, v5, v7, v9
	v_mul_f16_sdwa v5, v5, v7 dst_sel:DWORD dst_unused:UNUSED_PAD src0_sel:DWORD src1_sel:WORD_1
	v_cvt_f32_f16_e32 v9, v9
	v_fma_f16 v5, v7, v8, -v5
	v_cvt_f32_f16_e32 v5, v5
	v_cvt_f64_f32_e32 v[7:8], v9
	v_cvt_f64_f32_e32 v[9:10], v5
	v_mov_b32_e32 v5, s9
	v_mul_f64 v[7:8], v[7:8], s[14:15]
	v_addc_co_u32_e32 v4, vcc, v4, v5, vcc
	v_mul_f64 v[9:10], v[9:10], s[14:15]
	v_and_or_b32 v5, v8, s16, v7
	v_cmp_ne_u32_e32 vcc, 0, v5
	v_lshrrev_b32_e32 v7, 8, v8
	v_and_or_b32 v9, v10, s16, v9
	v_bfe_u32 v11, v8, 20, 11
	v_cndmask_b32_e64 v5, 0, 1, vcc
	v_cmp_ne_u32_e32 vcc, 0, v9
	v_lshrrev_b32_e32 v12, 8, v10
	v_bfe_u32 v13, v10, 20, 11
	v_sub_u32_e32 v14, 0x3f1, v11
	v_cndmask_b32_e64 v9, 0, 1, vcc
	v_and_or_b32 v5, v7, s10, v5
	v_sub_u32_e32 v15, 0x3f1, v13
	v_med3_i32 v7, v14, 0, 13
	v_and_or_b32 v9, v12, s10, v9
	v_or_b32_e32 v14, 0x1000, v5
	v_add_u32_e32 v11, 0xfffffc10, v11
	v_med3_i32 v12, v15, 0, 13
	v_cmp_ne_u32_e32 vcc, 0, v5
	v_or_b32_e32 v16, 0x1000, v9
	v_lshrrev_b32_e32 v18, v7, v14
	v_add_u32_e32 v13, 0xfffffc10, v13
	v_lshl_or_b32 v15, v11, 12, v5
	v_cndmask_b32_e64 v5, 0, 1, vcc
	v_cmp_ne_u32_e32 vcc, 0, v9
	v_lshrrev_b32_e32 v19, v12, v16
	v_lshlrev_b32_e32 v7, v7, v18
	v_lshl_or_b32 v17, v13, 12, v9
	v_cndmask_b32_e64 v9, 0, 1, vcc
	v_lshlrev_b32_e32 v12, v12, v19
	v_cmp_ne_u32_e32 vcc, v7, v14
	v_cndmask_b32_e64 v7, 0, 1, vcc
	v_cmp_ne_u32_e32 vcc, v12, v16
	v_cndmask_b32_e64 v12, 0, 1, vcc
	v_or_b32_e32 v7, v18, v7
	v_cmp_gt_i32_e32 vcc, 1, v11
	v_cndmask_b32_e32 v7, v15, v7, vcc
	v_or_b32_e32 v12, v19, v12
	v_cmp_gt_i32_e32 vcc, 1, v13
	v_and_b32_e32 v14, 7, v7
	v_cndmask_b32_e32 v12, v17, v12, vcc
	v_cmp_lt_i32_e32 vcc, 5, v14
	v_cmp_eq_u32_e64 s[0:1], 3, v14
	v_lshrrev_b32_e32 v7, 2, v7
	v_and_b32_e32 v15, 7, v12
	s_or_b64 vcc, s[0:1], vcc
	v_cmp_lt_i32_e64 s[2:3], 5, v15
	v_cmp_eq_u32_e64 s[4:5], 3, v15
	v_addc_co_u32_e32 v7, vcc, 0, v7, vcc
	v_lshrrev_b32_e32 v12, 2, v12
	s_or_b64 vcc, s[4:5], s[2:3]
	v_addc_co_u32_e32 v12, vcc, 0, v12, vcc
	v_cmp_gt_i32_e32 vcc, 31, v11
	v_cndmask_b32_e32 v7, v2, v7, vcc
	v_cmp_gt_i32_e32 vcc, 31, v13
	v_lshl_or_b32 v5, v5, 9, v2
	v_cndmask_b32_e32 v12, v2, v12, vcc
	v_cmp_eq_u32_e32 vcc, s18, v11
	v_lshrrev_b32_e32 v8, 16, v8
	v_lshl_or_b32 v9, v9, 9, v2
	v_cndmask_b32_e32 v5, v7, v5, vcc
	v_cmp_eq_u32_e32 vcc, s18, v13
	v_lshrrev_b32_e32 v10, 16, v10
	v_cndmask_b32_e32 v7, v12, v9, vcc
	v_and_or_b32 v5, v8, s17, v5
	v_and_or_b32 v7, v10, s17, v7
	v_and_b32_e32 v5, 0xffff, v5
	v_lshl_or_b32 v5, v7, 16, v5
	global_store_dword v[3:4], v5, off
	global_load_dword v5, v[0:1], off offset:944
	v_lshrrev_b32_e32 v7, 16, v6
	v_mov_b32_e32 v9, s9
	v_add_co_u32_e32 v3, vcc, s8, v3
	v_addc_co_u32_e32 v4, vcc, v4, v9, vcc
	s_waitcnt vmcnt(0)
	v_mul_f16_sdwa v8, v7, v5 dst_sel:DWORD dst_unused:UNUSED_PAD src0_sel:DWORD src1_sel:WORD_1
	v_fma_f16 v8, v6, v5, v8
	v_mul_f16_sdwa v6, v6, v5 dst_sel:DWORD dst_unused:UNUSED_PAD src0_sel:DWORD src1_sel:WORD_1
	v_cvt_f32_f16_e32 v8, v8
	v_fma_f16 v5, v5, v7, -v6
	v_cvt_f32_f16_e32 v7, v5
	v_cvt_f64_f32_e32 v[5:6], v8
	v_cvt_f64_f32_e32 v[7:8], v7
	v_mul_f64 v[5:6], v[5:6], s[14:15]
	v_mul_f64 v[7:8], v[7:8], s[14:15]
	v_and_or_b32 v5, v6, s16, v5
	v_cmp_ne_u32_e32 vcc, 0, v5
	v_and_or_b32 v7, v8, s16, v7
	v_lshrrev_b32_e32 v9, 8, v6
	v_bfe_u32 v10, v6, 20, 11
	v_cndmask_b32_e64 v5, 0, 1, vcc
	v_cmp_ne_u32_e32 vcc, 0, v7
	v_lshrrev_b32_e32 v11, 8, v8
	v_bfe_u32 v12, v8, 20, 11
	v_sub_u32_e32 v13, 0x3f1, v10
	v_cndmask_b32_e64 v7, 0, 1, vcc
	v_and_or_b32 v5, v9, s10, v5
	v_sub_u32_e32 v14, 0x3f1, v12
	v_med3_i32 v9, v13, 0, 13
	v_and_or_b32 v7, v11, s10, v7
	v_or_b32_e32 v13, 0x1000, v5
	v_add_u32_e32 v10, 0xfffffc10, v10
	v_med3_i32 v11, v14, 0, 13
	v_cmp_ne_u32_e32 vcc, 0, v5
	v_or_b32_e32 v15, 0x1000, v7
	v_lshrrev_b32_e32 v17, v9, v13
	v_add_u32_e32 v12, 0xfffffc10, v12
	v_lshl_or_b32 v14, v10, 12, v5
	v_cndmask_b32_e64 v5, 0, 1, vcc
	v_cmp_ne_u32_e32 vcc, 0, v7
	v_lshrrev_b32_e32 v18, v11, v15
	v_lshlrev_b32_e32 v9, v9, v17
	v_lshl_or_b32 v16, v12, 12, v7
	v_cndmask_b32_e64 v7, 0, 1, vcc
	v_lshlrev_b32_e32 v11, v11, v18
	v_cmp_ne_u32_e32 vcc, v9, v13
	v_cndmask_b32_e64 v9, 0, 1, vcc
	v_cmp_ne_u32_e32 vcc, v11, v15
	v_cndmask_b32_e64 v11, 0, 1, vcc
	v_or_b32_e32 v9, v17, v9
	v_cmp_gt_i32_e32 vcc, 1, v10
	v_cndmask_b32_e32 v9, v14, v9, vcc
	v_or_b32_e32 v11, v18, v11
	v_cmp_gt_i32_e32 vcc, 1, v12
	v_and_b32_e32 v13, 7, v9
	v_cndmask_b32_e32 v11, v16, v11, vcc
	v_cmp_lt_i32_e32 vcc, 5, v13
	v_cmp_eq_u32_e64 s[0:1], 3, v13
	v_lshrrev_b32_e32 v9, 2, v9
	v_and_b32_e32 v14, 7, v11
	s_or_b64 vcc, s[0:1], vcc
	v_cmp_lt_i32_e64 s[2:3], 5, v14
	v_cmp_eq_u32_e64 s[4:5], 3, v14
	v_addc_co_u32_e32 v9, vcc, 0, v9, vcc
	v_lshrrev_b32_e32 v11, 2, v11
	s_or_b64 vcc, s[4:5], s[2:3]
	v_addc_co_u32_e32 v11, vcc, 0, v11, vcc
	v_cmp_gt_i32_e32 vcc, 31, v10
	v_cndmask_b32_e32 v9, v2, v9, vcc
	v_cmp_gt_i32_e32 vcc, 31, v12
	v_lshl_or_b32 v5, v5, 9, v2
	v_cndmask_b32_e32 v11, v2, v11, vcc
	v_cmp_eq_u32_e32 vcc, s18, v10
	v_lshrrev_b32_e32 v6, 16, v6
	v_lshl_or_b32 v7, v7, 9, v2
	v_cndmask_b32_e32 v5, v9, v5, vcc
	v_cmp_eq_u32_e32 vcc, s18, v12
	v_lshrrev_b32_e32 v8, 16, v8
	v_cndmask_b32_e32 v7, v11, v7, vcc
	v_and_or_b32 v5, v6, s17, v5
	v_and_or_b32 v6, v8, s17, v7
	v_and_b32_e32 v5, 0xffff, v5
	v_lshl_or_b32 v5, v6, 16, v5
	global_store_dword v[3:4], v5, off
	global_load_dword v7, v[0:1], off offset:1304
	v_add_u32_e32 v5, 0x1400, v54
	ds_read2_b32 v[5:6], v5 offset0:70 offset1:160
	v_add_co_u32_e32 v3, vcc, s8, v3
	s_waitcnt lgkmcnt(0)
	v_lshrrev_b32_e32 v8, 16, v5
	s_waitcnt vmcnt(0)
	v_mul_f16_sdwa v9, v8, v7 dst_sel:DWORD dst_unused:UNUSED_PAD src0_sel:DWORD src1_sel:WORD_1
	v_fma_f16 v9, v5, v7, v9
	v_mul_f16_sdwa v5, v5, v7 dst_sel:DWORD dst_unused:UNUSED_PAD src0_sel:DWORD src1_sel:WORD_1
	v_cvt_f32_f16_e32 v9, v9
	v_fma_f16 v5, v7, v8, -v5
	v_cvt_f32_f16_e32 v5, v5
	v_cvt_f64_f32_e32 v[7:8], v9
	v_cvt_f64_f32_e32 v[9:10], v5
	v_mov_b32_e32 v5, s9
	v_mul_f64 v[7:8], v[7:8], s[14:15]
	v_addc_co_u32_e32 v4, vcc, v4, v5, vcc
	v_mul_f64 v[9:10], v[9:10], s[14:15]
	v_and_or_b32 v5, v8, s16, v7
	v_cmp_ne_u32_e32 vcc, 0, v5
	v_lshrrev_b32_e32 v7, 8, v8
	v_and_or_b32 v9, v10, s16, v9
	v_bfe_u32 v11, v8, 20, 11
	v_cndmask_b32_e64 v5, 0, 1, vcc
	v_cmp_ne_u32_e32 vcc, 0, v9
	v_lshrrev_b32_e32 v12, 8, v10
	v_bfe_u32 v13, v10, 20, 11
	v_sub_u32_e32 v14, 0x3f1, v11
	v_cndmask_b32_e64 v9, 0, 1, vcc
	v_and_or_b32 v5, v7, s10, v5
	v_sub_u32_e32 v15, 0x3f1, v13
	v_med3_i32 v7, v14, 0, 13
	v_and_or_b32 v9, v12, s10, v9
	v_or_b32_e32 v14, 0x1000, v5
	v_add_u32_e32 v11, 0xfffffc10, v11
	v_med3_i32 v12, v15, 0, 13
	v_cmp_ne_u32_e32 vcc, 0, v5
	v_or_b32_e32 v16, 0x1000, v9
	v_lshrrev_b32_e32 v18, v7, v14
	v_add_u32_e32 v13, 0xfffffc10, v13
	v_lshl_or_b32 v15, v11, 12, v5
	v_cndmask_b32_e64 v5, 0, 1, vcc
	v_cmp_ne_u32_e32 vcc, 0, v9
	v_lshrrev_b32_e32 v19, v12, v16
	v_lshlrev_b32_e32 v7, v7, v18
	v_lshl_or_b32 v17, v13, 12, v9
	v_cndmask_b32_e64 v9, 0, 1, vcc
	v_lshlrev_b32_e32 v12, v12, v19
	v_cmp_ne_u32_e32 vcc, v7, v14
	v_cndmask_b32_e64 v7, 0, 1, vcc
	v_cmp_ne_u32_e32 vcc, v12, v16
	v_cndmask_b32_e64 v12, 0, 1, vcc
	v_or_b32_e32 v7, v18, v7
	v_cmp_gt_i32_e32 vcc, 1, v11
	v_cndmask_b32_e32 v7, v15, v7, vcc
	v_or_b32_e32 v12, v19, v12
	v_cmp_gt_i32_e32 vcc, 1, v13
	v_and_b32_e32 v14, 7, v7
	v_cndmask_b32_e32 v12, v17, v12, vcc
	v_cmp_lt_i32_e32 vcc, 5, v14
	v_cmp_eq_u32_e64 s[0:1], 3, v14
	v_lshrrev_b32_e32 v7, 2, v7
	v_and_b32_e32 v15, 7, v12
	s_or_b64 vcc, s[0:1], vcc
	v_cmp_lt_i32_e64 s[2:3], 5, v15
	v_cmp_eq_u32_e64 s[4:5], 3, v15
	v_addc_co_u32_e32 v7, vcc, 0, v7, vcc
	v_lshrrev_b32_e32 v12, 2, v12
	s_or_b64 vcc, s[4:5], s[2:3]
	v_addc_co_u32_e32 v12, vcc, 0, v12, vcc
	v_cmp_gt_i32_e32 vcc, 31, v11
	v_cndmask_b32_e32 v7, v2, v7, vcc
	v_cmp_gt_i32_e32 vcc, 31, v13
	v_lshl_or_b32 v5, v5, 9, v2
	v_cndmask_b32_e32 v12, v2, v12, vcc
	v_cmp_eq_u32_e32 vcc, s18, v11
	v_lshrrev_b32_e32 v8, 16, v8
	v_lshl_or_b32 v9, v9, 9, v2
	v_cndmask_b32_e32 v5, v7, v5, vcc
	v_cmp_eq_u32_e32 vcc, s18, v13
	v_lshrrev_b32_e32 v10, 16, v10
	v_cndmask_b32_e32 v7, v12, v9, vcc
	v_and_or_b32 v5, v8, s17, v5
	v_and_or_b32 v7, v10, s17, v7
	v_and_b32_e32 v5, 0xffff, v5
	v_lshl_or_b32 v5, v7, 16, v5
	global_store_dword v[3:4], v5, off
	global_load_dword v0, v[0:1], off offset:1664
	v_lshrrev_b32_e32 v1, 16, v6
	v_mov_b32_e32 v7, s9
	s_waitcnt vmcnt(0)
	v_mul_f16_sdwa v5, v1, v0 dst_sel:DWORD dst_unused:UNUSED_PAD src0_sel:DWORD src1_sel:WORD_1
	v_fma_f16 v5, v6, v0, v5
	v_mul_f16_sdwa v6, v6, v0 dst_sel:DWORD dst_unused:UNUSED_PAD src0_sel:DWORD src1_sel:WORD_1
	v_cvt_f32_f16_e32 v5, v5
	v_fma_f16 v0, v0, v1, -v6
	v_cvt_f32_f16_e32 v6, v0
	v_cvt_f64_f32_e32 v[0:1], v5
	v_cvt_f64_f32_e32 v[5:6], v6
	v_mul_f64 v[0:1], v[0:1], s[14:15]
	v_mul_f64 v[5:6], v[5:6], s[14:15]
	v_and_or_b32 v0, v1, s16, v0
	v_cmp_ne_u32_e32 vcc, 0, v0
	v_and_or_b32 v5, v6, s16, v5
	v_lshrrev_b32_e32 v8, 8, v1
	v_bfe_u32 v9, v1, 20, 11
	v_cndmask_b32_e64 v0, 0, 1, vcc
	v_cmp_ne_u32_e32 vcc, 0, v5
	v_lshrrev_b32_e32 v10, 8, v6
	v_bfe_u32 v11, v6, 20, 11
	v_sub_u32_e32 v12, 0x3f1, v9
	v_cndmask_b32_e64 v5, 0, 1, vcc
	v_and_or_b32 v0, v8, s10, v0
	v_sub_u32_e32 v13, 0x3f1, v11
	v_med3_i32 v8, v12, 0, 13
	v_and_or_b32 v5, v10, s10, v5
	v_or_b32_e32 v12, 0x1000, v0
	v_add_u32_e32 v9, 0xfffffc10, v9
	v_med3_i32 v10, v13, 0, 13
	v_cmp_ne_u32_e32 vcc, 0, v0
	v_or_b32_e32 v14, 0x1000, v5
	v_lshrrev_b32_e32 v16, v8, v12
	v_add_u32_e32 v11, 0xfffffc10, v11
	v_lshl_or_b32 v13, v9, 12, v0
	v_cndmask_b32_e64 v0, 0, 1, vcc
	v_cmp_ne_u32_e32 vcc, 0, v5
	v_lshrrev_b32_e32 v17, v10, v14
	v_lshlrev_b32_e32 v8, v8, v16
	v_lshl_or_b32 v15, v11, 12, v5
	v_cndmask_b32_e64 v5, 0, 1, vcc
	v_lshlrev_b32_e32 v10, v10, v17
	v_cmp_ne_u32_e32 vcc, v8, v12
	v_cndmask_b32_e64 v8, 0, 1, vcc
	v_cmp_ne_u32_e32 vcc, v10, v14
	v_cndmask_b32_e64 v10, 0, 1, vcc
	v_or_b32_e32 v8, v16, v8
	v_cmp_gt_i32_e32 vcc, 1, v9
	v_cndmask_b32_e32 v8, v13, v8, vcc
	v_or_b32_e32 v10, v17, v10
	v_cmp_gt_i32_e32 vcc, 1, v11
	v_and_b32_e32 v12, 7, v8
	v_cndmask_b32_e32 v10, v15, v10, vcc
	v_cmp_lt_i32_e32 vcc, 5, v12
	v_cmp_eq_u32_e64 s[0:1], 3, v12
	v_lshrrev_b32_e32 v8, 2, v8
	v_and_b32_e32 v13, 7, v10
	s_or_b64 vcc, s[0:1], vcc
	v_cmp_lt_i32_e64 s[2:3], 5, v13
	v_cmp_eq_u32_e64 s[4:5], 3, v13
	v_addc_co_u32_e32 v8, vcc, 0, v8, vcc
	v_lshrrev_b32_e32 v10, 2, v10
	s_or_b64 vcc, s[4:5], s[2:3]
	v_addc_co_u32_e32 v10, vcc, 0, v10, vcc
	v_cmp_gt_i32_e32 vcc, 31, v9
	v_cndmask_b32_e32 v8, v2, v8, vcc
	v_cmp_gt_i32_e32 vcc, 31, v11
	v_lshl_or_b32 v0, v0, 9, v2
	v_lshl_or_b32 v5, v5, 9, v2
	v_cndmask_b32_e32 v2, v2, v10, vcc
	v_cmp_eq_u32_e32 vcc, s18, v9
	v_lshrrev_b32_e32 v1, 16, v1
	v_cndmask_b32_e32 v0, v8, v0, vcc
	v_cmp_eq_u32_e32 vcc, s18, v11
	v_lshrrev_b32_e32 v6, 16, v6
	v_cndmask_b32_e32 v2, v2, v5, vcc
	v_and_or_b32 v0, v1, s17, v0
	v_and_or_b32 v1, v6, s17, v2
	v_and_b32_e32 v0, 0xffff, v0
	v_lshl_or_b32 v2, v1, 16, v0
	v_add_co_u32_e32 v0, vcc, s8, v3
	v_addc_co_u32_e32 v1, vcc, v4, v7, vcc
	global_store_dword v[0:1], v2, off
.LBB0_23:
	s_endpgm
	.section	.rodata,"a",@progbits
	.p2align	6, 0x0
	.amdhsa_kernel bluestein_single_fwd_len1530_dim1_half_op_CI_CI
		.amdhsa_group_segment_fixed_size 6120
		.amdhsa_private_segment_fixed_size 44
		.amdhsa_kernarg_size 104
		.amdhsa_user_sgpr_count 6
		.amdhsa_user_sgpr_private_segment_buffer 1
		.amdhsa_user_sgpr_dispatch_ptr 0
		.amdhsa_user_sgpr_queue_ptr 0
		.amdhsa_user_sgpr_kernarg_segment_ptr 1
		.amdhsa_user_sgpr_dispatch_id 0
		.amdhsa_user_sgpr_flat_scratch_init 0
		.amdhsa_user_sgpr_private_segment_size 0
		.amdhsa_uses_dynamic_stack 0
		.amdhsa_system_sgpr_private_segment_wavefront_offset 1
		.amdhsa_system_sgpr_workgroup_id_x 1
		.amdhsa_system_sgpr_workgroup_id_y 0
		.amdhsa_system_sgpr_workgroup_id_z 0
		.amdhsa_system_sgpr_workgroup_info 0
		.amdhsa_system_vgpr_workitem_id 0
		.amdhsa_next_free_vgpr 256
		.amdhsa_next_free_sgpr 44
		.amdhsa_reserve_vcc 1
		.amdhsa_reserve_flat_scratch 0
		.amdhsa_float_round_mode_32 0
		.amdhsa_float_round_mode_16_64 0
		.amdhsa_float_denorm_mode_32 3
		.amdhsa_float_denorm_mode_16_64 3
		.amdhsa_dx10_clamp 1
		.amdhsa_ieee_mode 1
		.amdhsa_fp16_overflow 0
		.amdhsa_exception_fp_ieee_invalid_op 0
		.amdhsa_exception_fp_denorm_src 0
		.amdhsa_exception_fp_ieee_div_zero 0
		.amdhsa_exception_fp_ieee_overflow 0
		.amdhsa_exception_fp_ieee_underflow 0
		.amdhsa_exception_fp_ieee_inexact 0
		.amdhsa_exception_int_div_zero 0
	.end_amdhsa_kernel
	.text
.Lfunc_end0:
	.size	bluestein_single_fwd_len1530_dim1_half_op_CI_CI, .Lfunc_end0-bluestein_single_fwd_len1530_dim1_half_op_CI_CI
                                        ; -- End function
	.section	.AMDGPU.csdata,"",@progbits
; Kernel info:
; codeLenInByte = 31992
; NumSgprs: 48
; NumVgprs: 256
; ScratchSize: 44
; MemoryBound: 0
; FloatMode: 240
; IeeeMode: 1
; LDSByteSize: 6120 bytes/workgroup (compile time only)
; SGPRBlocks: 5
; VGPRBlocks: 63
; NumSGPRsForWavesPerEU: 48
; NumVGPRsForWavesPerEU: 256
; Occupancy: 1
; WaveLimiterHint : 1
; COMPUTE_PGM_RSRC2:SCRATCH_EN: 1
; COMPUTE_PGM_RSRC2:USER_SGPR: 6
; COMPUTE_PGM_RSRC2:TRAP_HANDLER: 0
; COMPUTE_PGM_RSRC2:TGID_X_EN: 1
; COMPUTE_PGM_RSRC2:TGID_Y_EN: 0
; COMPUTE_PGM_RSRC2:TGID_Z_EN: 0
; COMPUTE_PGM_RSRC2:TIDIG_COMP_CNT: 0
	.type	__hip_cuid_6f3a7bded4164644,@object ; @__hip_cuid_6f3a7bded4164644
	.section	.bss,"aw",@nobits
	.globl	__hip_cuid_6f3a7bded4164644
__hip_cuid_6f3a7bded4164644:
	.byte	0                               ; 0x0
	.size	__hip_cuid_6f3a7bded4164644, 1

	.ident	"AMD clang version 19.0.0git (https://github.com/RadeonOpenCompute/llvm-project roc-6.4.0 25133 c7fe45cf4b819c5991fe208aaa96edf142730f1d)"
	.section	".note.GNU-stack","",@progbits
	.addrsig
	.addrsig_sym __hip_cuid_6f3a7bded4164644
	.amdgpu_metadata
---
amdhsa.kernels:
  - .args:
      - .actual_access:  read_only
        .address_space:  global
        .offset:         0
        .size:           8
        .value_kind:     global_buffer
      - .actual_access:  read_only
        .address_space:  global
        .offset:         8
        .size:           8
        .value_kind:     global_buffer
      - .actual_access:  read_only
        .address_space:  global
        .offset:         16
        .size:           8
        .value_kind:     global_buffer
      - .actual_access:  read_only
        .address_space:  global
        .offset:         24
        .size:           8
        .value_kind:     global_buffer
      - .actual_access:  read_only
        .address_space:  global
        .offset:         32
        .size:           8
        .value_kind:     global_buffer
      - .offset:         40
        .size:           8
        .value_kind:     by_value
      - .address_space:  global
        .offset:         48
        .size:           8
        .value_kind:     global_buffer
      - .address_space:  global
        .offset:         56
        .size:           8
        .value_kind:     global_buffer
      - .address_space:  global
        .offset:         64
        .size:           8
        .value_kind:     global_buffer
      - .address_space:  global
        .offset:         72
        .size:           8
        .value_kind:     global_buffer
      - .offset:         80
        .size:           4
        .value_kind:     by_value
      - .address_space:  global
        .offset:         88
        .size:           8
        .value_kind:     global_buffer
      - .address_space:  global
        .offset:         96
        .size:           8
        .value_kind:     global_buffer
    .group_segment_fixed_size: 6120
    .kernarg_segment_align: 8
    .kernarg_segment_size: 104
    .language:       OpenCL C
    .language_version:
      - 2
      - 0
    .max_flat_workgroup_size: 102
    .name:           bluestein_single_fwd_len1530_dim1_half_op_CI_CI
    .private_segment_fixed_size: 44
    .sgpr_count:     48
    .sgpr_spill_count: 0
    .symbol:         bluestein_single_fwd_len1530_dim1_half_op_CI_CI.kd
    .uniform_work_group_size: 1
    .uses_dynamic_stack: false
    .vgpr_count:     256
    .vgpr_spill_count: 10
    .wavefront_size: 64
amdhsa.target:   amdgcn-amd-amdhsa--gfx906
amdhsa.version:
  - 1
  - 2
...

	.end_amdgpu_metadata
